;; amdgpu-corpus repo=ROCm/rocFFT kind=compiled arch=gfx1030 opt=O3
	.text
	.amdgcn_target "amdgcn-amd-amdhsa--gfx1030"
	.amdhsa_code_object_version 6
	.protected	bluestein_single_fwd_len6561_dim1_sp_op_CI_CI ; -- Begin function bluestein_single_fwd_len6561_dim1_sp_op_CI_CI
	.globl	bluestein_single_fwd_len6561_dim1_sp_op_CI_CI
	.p2align	8
	.type	bluestein_single_fwd_len6561_dim1_sp_op_CI_CI,@function
bluestein_single_fwd_len6561_dim1_sp_op_CI_CI: ; @bluestein_single_fwd_len6561_dim1_sp_op_CI_CI
; %bb.0:
	s_load_dwordx4 s[16:19], s[4:5], 0x28
	v_mul_u32_u24_e32 v1, 0x10e, v0
	s_mov_b64 s[22:23], s[2:3]
	s_mov_b64 s[20:21], s[0:1]
	v_mov_b32_e32 v3, 0
	s_add_u32 s20, s20, s7
	v_lshrrev_b32_e32 v1, 16, v1
	s_addc_u32 s21, s21, 0
	s_mov_b32 s0, exec_lo
	v_add_nc_u32_e32 v2, s6, v1
	s_waitcnt lgkmcnt(0)
	v_cmpx_gt_u64_e64 s[16:17], v[2:3]
	s_cbranch_execz .LBB0_2
; %bb.1:
	s_clause 0x1
	s_load_dwordx4 s[12:15], s[4:5], 0x18
	s_load_dwordx4 s[8:11], s[4:5], 0x0
	v_mov_b32_e32 v4, v2
	v_mul_lo_u16 v1, 0xf3, v1
	v_sub_nc_u16 v8, v0, v1
	v_and_b32_e32 v6, 0xffff, v8
	s_waitcnt lgkmcnt(0)
	s_load_dwordx4 s[0:3], s[12:13], 0x0
	buffer_store_dword v4, off, s[20:23], 0 ; 4-byte Folded Spill
	buffer_store_dword v5, off, s[20:23], 0 offset:4 ; 4-byte Folded Spill
	s_waitcnt lgkmcnt(0)
	v_mad_u64_u32 v[0:1], null, s2, v2, 0
	v_mad_u64_u32 v[2:3], null, s0, v6, 0
	s_mul_hi_u32 s13, s0, 0x4458
	s_mul_i32 s12, s0, 0x4458
	s_mul_i32 s16, s0, 0xffff7ee8
	v_mad_u64_u32 v[4:5], null, s3, v4, v[1:2]
	v_mov_b32_e32 v1, v6
	v_lshlrev_b32_e32 v75, 3, v1
	v_mad_u64_u32 v[5:6], null, s1, v1, v[3:4]
	v_mov_b32_e32 v64, v1
	v_mov_b32_e32 v1, v4
	v_add_co_u32 v72, s2, s8, v75
	v_add_co_ci_u32_e64 v90, null, s9, 0, s2
	v_mov_b32_e32 v3, v5
	v_lshlrev_b64 v[0:1], 3, v[0:1]
	v_add_co_u32 v4, vcc_lo, 0x4000, v72
	v_add_co_ci_u32_e32 v5, vcc_lo, 0, v90, vcc_lo
	v_lshlrev_b64 v[2:3], 3, v[2:3]
	v_add_co_u32 v0, vcc_lo, s18, v0
	v_add_co_ci_u32_e32 v1, vcc_lo, s19, v1, vcc_lo
	s_mul_i32 s2, s1, 0x4458
	v_add_co_u32 v2, vcc_lo, v0, v2
	v_add_co_ci_u32_e32 v3, vcc_lo, v1, v3, vcc_lo
	s_add_i32 s13, s13, s2
	v_add_co_u32 v6, vcc_lo, v2, s12
	v_add_co_ci_u32_e32 v7, vcc_lo, s13, v3, vcc_lo
	global_load_dwordx2 v[25:26], v[4:5], off offset:1112
	global_load_dwordx2 v[0:1], v[6:7], off
	v_add_co_u32 v9, vcc_lo, 0x8800, v72
	v_add_co_ci_u32_e32 v10, vcc_lo, 0, v90, vcc_lo
	global_load_dwordx2 v[58:59], v75, s[8:9]
	global_load_dwordx2 v[4:5], v[2:3], off
	global_load_dwordx2 v[44:45], v[9:10], off offset:176
	v_add_co_u32 v2, vcc_lo, v6, s12
	s_mul_hi_u32 s2, s0, 0xffff7ee8
	v_add_co_ci_u32_e32 v3, vcc_lo, s13, v7, vcc_lo
	s_mul_i32 s1, s1, 0xffff7ee8
	s_sub_i32 s17, s2, s0
	v_add_co_u32 v9, vcc_lo, v2, s16
	s_add_i32 s17, s17, s1
	v_add_co_u32 v13, s0, 0x9000, v72
	v_add_co_ci_u32_e32 v10, vcc_lo, s17, v3, vcc_lo
	v_add_co_u32 v11, vcc_lo, 0x4800, v72
	v_add_co_u32 v15, s1, 0x800, v72
	v_add_co_ci_u32_e32 v12, vcc_lo, 0, v90, vcc_lo
	v_add_co_ci_u32_e64 v14, vcc_lo, 0, v90, s0
	v_add_co_ci_u32_e64 v16, vcc_lo, 0, v90, s1
	global_load_dwordx2 v[6:7], v[2:3], off
	global_load_dwordx2 v[60:61], v75, s[8:9] offset:1944
	global_load_dwordx2 v[2:3], v[9:10], off
	v_add_co_u32 v9, vcc_lo, v9, s12
	v_add_co_u32 v17, s2, 0x5000, v72
	v_add_co_ci_u32_e32 v10, vcc_lo, s13, v10, vcc_lo
	v_add_co_ci_u32_e64 v18, vcc_lo, 0, v90, s2
	v_add_co_u32 v32, vcc_lo, v9, s12
	v_add_co_ci_u32_e32 v33, vcc_lo, s13, v10, vcc_lo
	global_load_dwordx2 v[54:55], v[11:12], off offset:1008
	v_add_co_u32 v11, vcc_lo, v32, s16
	v_add_co_ci_u32_e32 v12, vcc_lo, s17, v33, vcc_lo
	v_add_co_u32 v19, s3, 0x1000, v72
	v_add_co_u32 v34, vcc_lo, v11, s12
	v_add_co_ci_u32_e32 v35, vcc_lo, s13, v12, vcc_lo
	v_add_co_u32 v21, s6, 0x5800, v72
	v_add_co_u32 v23, s7, 0x9800, v72
	;; [unrolled: 1-line block ×4, first 2 shown]
	v_add_co_ci_u32_e64 v20, vcc_lo, 0, v90, s3
	v_add_co_ci_u32_e64 v22, vcc_lo, 0, v90, s6
	;; [unrolled: 1-line block ×5, first 2 shown]
	global_load_dwordx2 v[9:10], v[9:10], off
	global_load_dwordx2 v[56:57], v[17:18], off offset:904
	global_load_dwordx2 v[17:18], v[34:35], off
	s_clause 0x2
	global_load_dwordx2 v[50:51], v[15:16], off offset:1840
	global_load_dwordx2 v[62:63], v[13:14], off offset:72
	global_load_dwordx2 v[46:47], v[13:14], off offset:2016
	global_load_dwordx2 v[13:14], v[32:33], off
	v_add_co_u32 v15, vcc_lo, v34, s12
	v_add_co_ci_u32_e32 v16, vcc_lo, s13, v35, vcc_lo
	global_load_dwordx2 v[11:12], v[11:12], off
	v_add_co_u32 v32, vcc_lo, v15, s16
	v_add_co_ci_u32_e32 v33, vcc_lo, s17, v16, vcc_lo
	s_clause 0x1
	global_load_dwordx2 v[52:53], v[19:20], off offset:1736
	global_load_dwordx2 v[42:43], v[21:22], off offset:800
	global_load_dwordx2 v[15:16], v[15:16], off
	global_load_dwordx2 v[48:49], v[23:24], off offset:1912
	global_load_dwordx2 v[19:20], v[32:33], off
	v_add_co_u32 v21, vcc_lo, v32, s12
	v_add_co_ci_u32_e32 v22, vcc_lo, s13, v33, vcc_lo
	s_clause 0x1
	global_load_dwordx2 v[40:41], v[28:29], off offset:696
	global_load_dwordx2 v[38:39], v[30:31], off offset:1808
	v_add_co_u32 v23, vcc_lo, v21, s12
	v_add_co_ci_u32_e32 v24, vcc_lo, s13, v22, vcc_lo
	global_load_dwordx2 v[21:22], v[21:22], off
	v_add_co_u32 v28, vcc_lo, v23, s16
	v_add_co_ci_u32_e32 v29, vcc_lo, s17, v24, vcc_lo
	global_load_dwordx2 v[23:24], v[23:24], off
	v_add_co_u32 v30, vcc_lo, v28, s12
	v_add_co_ci_u32_e32 v31, vcc_lo, s13, v29, vcc_lo
	v_add_nc_u32_e32 v255, 0x5b00, v75
	v_add_co_u32 v32, vcc_lo, v30, s12
	v_add_co_ci_u32_e32 v33, vcc_lo, s13, v31, vcc_lo
	global_load_dwordx2 v[30:31], v[30:31], off
	v_mov_b32_e32 v190, v64
	s_waitcnt vmcnt(24)
	buffer_store_dword v58, off, s[20:23], 0 offset:208 ; 4-byte Folded Spill
	buffer_store_dword v59, off, s[20:23], 0 offset:212 ; 4-byte Folded Spill
	v_mov_b32_e32 v27, v26
	v_mov_b32_e32 v26, v25
	;; [unrolled: 1-line block ×4, first 2 shown]
	buffer_store_dword v35, off, s[20:23], 0 offset:128 ; 4-byte Folded Spill
	buffer_store_dword v36, off, s[20:23], 0 offset:132 ; 4-byte Folded Spill
	v_mul_f32_e32 v34, v1, v27
	v_mul_f32_e32 v25, v0, v27
	v_add_nc_u32_e32 v27, 0xf00, v75
	v_mov_b32_e32 v191, v27
	s_waitcnt vmcnt(23)
	v_mul_f32_e32 v26, v4, v59
	v_mul_f32_e32 v36, v5, v59
	v_fma_f32 v37, v5, v58, -v26
	v_fmac_f32_e32 v36, v4, v58
	v_fmac_f32_e32 v34, v0, v35
	v_add_co_u32 v0, vcc_lo, v32, s16
	v_fma_f32 v35, v1, v35, -v25
	v_add_co_ci_u32_e32 v1, vcc_lo, s17, v33, vcc_lo
	global_load_dwordx2 v[32:33], v[32:33], off
	s_waitcnt vmcnt(23)
	buffer_store_dword v44, off, s[20:23], 0 offset:176 ; 4-byte Folded Spill
	buffer_store_dword v45, off, s[20:23], 0 offset:180 ; 4-byte Folded Spill
	s_waitcnt vmcnt(20)
	v_mul_f32_e32 v25, v2, v61
	ds_write_b64 v75, v[34:35] offset:17496
	v_add_co_u32 v34, vcc_lo, 0x1800, v72
	v_add_co_ci_u32_e32 v35, vcc_lo, 0, v90, vcc_lo
	v_mul_f32_e32 v4, v7, v45
	v_mul_f32_e32 v5, v6, v45
	v_fmac_f32_e32 v4, v6, v44
	v_fma_f32 v5, v7, v44, -v5
	v_mul_f32_e32 v6, v3, v61
	v_fma_f32 v7, v3, v60, -v25
	buffer_store_dword v60, off, s[20:23], 0 offset:216 ; 4-byte Folded Spill
	buffer_store_dword v61, off, s[20:23], 0 offset:220 ; 4-byte Folded Spill
	global_load_dwordx2 v[44:45], v[34:35], off offset:1632
	global_load_dwordx2 v[28:29], v[28:29], off
	ds_write_b64 v75, v[4:5] offset:34992
	v_fmac_f32_e32 v6, v2, v60
	v_add_co_u32 v2, vcc_lo, 0x2000, v72
	v_add_co_ci_u32_e32 v3, vcc_lo, 0, v90, vcc_lo
	ds_write2_b64 v75, v[36:37], v[6:7] offset1:243
	global_load_dwordx2 v[25:26], v[2:3], off offset:1528
	global_load_dwordx2 v[2:3], v[0:1], off
	s_waitcnt vmcnt(23)
	buffer_store_dword v54, off, s[20:23], 0 offset:184 ; 4-byte Folded Spill
	buffer_store_dword v55, off, s[20:23], 0 offset:188 ; 4-byte Folded Spill
	s_waitcnt vmcnt(21)
	buffer_store_dword v56, off, s[20:23], 0 offset:192 ; 4-byte Folded Spill
	buffer_store_dword v57, off, s[20:23], 0 offset:196 ; 4-byte Folded Spill
	;; [unrolled: 3-line block ×3, first 2 shown]
	v_add_co_u32 v0, vcc_lo, v0, s12
	v_add_co_ci_u32_e32 v1, vcc_lo, s13, v1, vcc_lo
	v_mul_f32_e32 v4, v10, v55
	v_mul_f32_e32 v5, v9, v55
	;; [unrolled: 1-line block ×4, first 2 shown]
	v_fmac_f32_e32 v4, v9, v54
	v_fma_f32 v5, v10, v54, -v5
	v_add_nc_u32_e32 v10, 0x4bc0, v75
	v_fma_f32 v7, v18, v56, -v7
	v_fmac_f32_e32 v6, v17, v56
	s_waitcnt vmcnt(16)
	v_mul_f32_e32 v9, v13, v63
	v_add_nc_u32_e32 v18, 0x9000, v75
	v_mov_b32_e32 v246, v10
	s_waitcnt vmcnt(4)
	v_mul_f32_e32 v17, v33, v39
	ds_write2_b64 v10, v[4:5], v[6:7] offset0:6 offset1:249
	buffer_store_dword v50, off, s[20:23], 0 offset:152 ; 4-byte Folded Spill
	buffer_store_dword v51, off, s[20:23], 0 offset:156 ; 4-byte Folded Spill
	;; [unrolled: 1-line block ×4, first 2 shown]
	v_mul_f32_e32 v4, v14, v63
	v_fma_f32 v5, v14, v62, -v9
	v_mov_b32_e32 v254, v18
	v_fmac_f32_e32 v4, v13, v62
	v_add_co_u32 v13, vcc_lo, 0x6800, v72
	v_add_co_ci_u32_e32 v14, vcc_lo, 0, v90, vcc_lo
	v_mul_f32_e32 v7, v11, v51
	v_mul_f32_e32 v6, v12, v51
	v_mul_f32_e32 v9, v16, v47
	v_mul_f32_e32 v10, v15, v47
	v_fma_f32 v7, v12, v50, -v7
	v_mul_f32_e32 v12, v19, v53
	v_fmac_f32_e32 v6, v11, v50
	v_mul_f32_e32 v11, v20, v53
	v_fmac_f32_e32 v9, v15, v46
	v_fma_f32 v10, v16, v46, -v10
	v_fma_f32 v12, v20, v52, -v12
	buffer_store_dword v52, off, s[20:23], 0 offset:160 ; 4-byte Folded Spill
	buffer_store_dword v53, off, s[20:23], 0 offset:164 ; 4-byte Folded Spill
	v_add_co_u32 v15, vcc_lo, 0x7000, v72
	global_load_dwordx2 v[34:35], v[13:14], off offset:592
	ds_write2_b64 v18, v[4:5], v[9:10] offset0:9 offset1:252
	buffer_store_dword v42, off, s[20:23], 0 offset:112 ; 4-byte Folded Spill
	buffer_store_dword v43, off, s[20:23], 0 offset:116 ; 4-byte Folded Spill
	v_add_co_ci_u32_e32 v16, vcc_lo, 0, v90, vcc_lo
	v_add_co_u32 v4, vcc_lo, v0, s12
	v_add_co_ci_u32_e32 v5, vcc_lo, s13, v1, vcc_lo
	global_load_dwordx2 v[0:1], v[0:1], off
	v_mul_f32_e32 v13, v31, v41
	v_mul_f32_e32 v14, v30, v41
	v_mul_f32_e32 v18, v32, v39
	v_fma_f32 v18, v33, v38, -v18
	v_fmac_f32_e32 v11, v19, v52
	ds_write2_b64 v27, v[6:7], v[11:12] offset0:6 offset1:249
	v_mul_f32_e32 v6, v24, v49
	v_mul_f32_e32 v12, v23, v49
	buffer_store_dword v48, off, s[20:23], 0 offset:168 ; 4-byte Folded Spill
	buffer_store_dword v49, off, s[20:23], 0 offset:172 ; 4-byte Folded Spill
	buffer_store_dword v40, off, s[20:23], 0 offset:120 ; 4-byte Folded Spill
	buffer_store_dword v41, off, s[20:23], 0 offset:124 ; 4-byte Folded Spill
	buffer_store_dword v38, off, s[20:23], 0 offset:104 ; 4-byte Folded Spill
	buffer_store_dword v39, off, s[20:23], 0 offset:108 ; 4-byte Folded Spill
	v_mul_f32_e32 v7, v21, v43
	v_mul_f32_e32 v9, v22, v43
	v_add_co_u32 v11, vcc_lo, v4, s16
	v_fma_f32 v10, v22, v42, -v7
	v_fmac_f32_e32 v9, v21, v42
	global_load_dwordx2 v[21:22], v[15:16], off offset:488
	v_fma_f32 v7, v24, v48, -v12
	v_add_co_ci_u32_e32 v12, vcc_lo, s17, v5, vcc_lo
	v_fmac_f32_e32 v13, v30, v40
	v_fma_f32 v14, v31, v40, -v14
	v_add_co_u32 v19, vcc_lo, v11, s12
	v_add_co_ci_u32_e32 v20, vcc_lo, s13, v12, vcc_lo
	ds_write2_b64 v255, v[9:10], v[13:14] offset0:4 offset1:247
	v_add_co_u32 v13, vcc_lo, 0xa800, v72
	v_fmac_f32_e32 v6, v23, v48
	v_fmac_f32_e32 v17, v32, v38
	v_add_nc_u32_e32 v23, 0x9f40, v75
	v_add_co_ci_u32_e32 v14, vcc_lo, 0, v90, vcc_lo
	global_load_dwordx2 v[9:10], v[19:20], off
	v_add_co_u32 v15, vcc_lo, v19, s12
	ds_write2_b64 v23, v[6:7], v[17:18] offset0:7 offset1:250
	s_waitcnt vmcnt(7)
	buffer_store_dword v44, off, s[20:23], 0 offset:136 ; 4-byte Folded Spill
	buffer_store_dword v45, off, s[20:23], 0 offset:140 ; 4-byte Folded Spill
	global_load_dwordx2 v[23:24], v[13:14], off offset:1704
	global_load_dwordx2 v[4:5], v[4:5], off
	s_waitcnt vmcnt(7)
	buffer_store_dword v25, off, s[20:23], 0 offset:80 ; 4-byte Folded Spill
	buffer_store_dword v26, off, s[20:23], 0 offset:84 ; 4-byte Folded Spill
	v_add_co_u32 v6, s0, 0xb000, v72
	v_add_co_ci_u32_e32 v16, vcc_lo, s13, v20, vcc_lo
	v_add_co_ci_u32_e64 v7, vcc_lo, 0, v90, s0
	global_load_dwordx2 v[19:20], v[6:7], off offset:1600
	v_add_nc_u32_e32 v6, 0x1e00, v75
	v_mov_b32_e32 v200, v6
	v_mul_f32_e32 v17, v29, v45
	v_mul_f32_e32 v18, v28, v45
	s_waitcnt vmcnt(7)
	v_mul_f32_e32 v13, v3, v26
	v_mul_f32_e32 v14, v2, v26
	v_fmac_f32_e32 v17, v28, v44
	v_fma_f32 v18, v29, v44, -v18
	v_fmac_f32_e32 v13, v2, v25
	v_fma_f32 v14, v3, v25, -v14
	global_load_dwordx2 v[2:3], v[15:16], off
	ds_write2_b64 v6, v[17:18], v[13:14] offset0:12 offset1:255
	s_waitcnt vmcnt(7)
	buffer_store_dword v34, off, s[20:23], 0 offset:88 ; 4-byte Folded Spill
	buffer_store_dword v35, off, s[20:23], 0 offset:92 ; 4-byte Folded Spill
	s_waitcnt vmcnt(5)
	buffer_store_dword v21, off, s[20:23], 0 offset:24 ; 4-byte Folded Spill
	buffer_store_dword v22, off, s[20:23], 0 offset:28 ; 4-byte Folded Spill
	v_add_nc_u32_e32 v13, 0x6a00, v75
	s_waitcnt vmcnt(2)
	v_mul_f32_e32 v14, v4, v24
	v_mov_b32_e32 v228, v13
	v_mul_f32_e32 v6, v1, v35
	v_mul_f32_e32 v7, v0, v35
	v_fmac_f32_e32 v6, v0, v34
	v_fma_f32 v7, v1, v34, -v7
	v_mul_f32_e32 v0, v10, v22
	v_mul_f32_e32 v1, v9, v22
	v_fmac_f32_e32 v0, v9, v21
	v_fma_f32 v1, v10, v21, -v1
	v_add_co_u32 v9, vcc_lo, 0x2800, v72
	v_add_co_ci_u32_e32 v10, vcc_lo, 0, v90, vcc_lo
	ds_write2_b64 v13, v[6:7], v[0:1] offset0:10 offset1:253
	v_mul_f32_e32 v13, v5, v24
	buffer_store_dword v23, off, s[20:23], 0 offset:72 ; 4-byte Folded Spill
	buffer_store_dword v24, off, s[20:23], 0 offset:76 ; 4-byte Folded Spill
	s_waitcnt vmcnt(1)
	buffer_store_dword v19, off, s[20:23], 0 offset:56 ; 4-byte Folded Spill
	buffer_store_dword v20, off, s[20:23], 0 offset:60 ; 4-byte Folded Spill
	v_add_co_u32 v0, s0, 0x3000, v72
	v_add_co_ci_u32_e64 v1, vcc_lo, 0, v90, s0
	v_add_co_u32 v6, s1, v15, s16
	v_add_co_ci_u32_e64 v7, s1, s17, v16, s1
	s_clause 0x1
	global_load_dwordx2 v[15:16], v[9:10], off offset:1424
	global_load_dwordx2 v[9:10], v[0:1], off offset:1320
	global_load_dwordx2 v[0:1], v[11:12], off
	v_add_nc_u32_e32 v11, 0xae80, v75
	v_add_nc_u32_e32 v24, 0x9780, v75
	v_mov_b32_e32 v192, v24
	v_fmac_f32_e32 v13, v4, v23
	v_fma_f32 v14, v5, v23, -v14
	s_waitcnt vmcnt(3)
	v_mul_f32_e32 v4, v3, v20
	v_mul_f32_e32 v5, v2, v20
	v_add_nc_u32_e32 v23, 0xa700, v75
	v_fmac_f32_e32 v4, v2, v19
	v_fma_f32 v5, v3, v19, -v5
	v_add_co_u32 v2, vcc_lo, v6, s12
	v_add_co_ci_u32_e32 v3, vcc_lo, s13, v7, vcc_lo
	global_load_dwordx2 v[6:7], v[6:7], off
	ds_write2_b64 v11, v[13:14], v[4:5] offset0:5 offset1:248
	s_waitcnt vmcnt(3)
	buffer_store_dword v15, off, s[20:23], 0 offset:96 ; 4-byte Folded Spill
	buffer_store_dword v16, off, s[20:23], 0 offset:100 ; 4-byte Folded Spill
	s_waitcnt vmcnt(2)
	v_mov_b32_e32 v11, v10
	v_mov_b32_e32 v10, v9
	;; [unrolled: 1-line block ×3, first 2 shown]
	s_waitcnt vmcnt(0)
	v_mul_f32_e32 v9, v6, v11
	v_mul_f32_e32 v4, v1, v16
	;; [unrolled: 1-line block ×3, first 2 shown]
	v_fmac_f32_e32 v4, v0, v15
	v_mul_f32_e32 v0, v7, v11
	v_mov_b32_e32 v12, v11
	v_mov_b32_e32 v11, v10
	buffer_store_dword v11, off, s[20:23], 0 offset:48 ; 4-byte Folded Spill
	buffer_store_dword v12, off, s[20:23], 0 offset:52 ; 4-byte Folded Spill
	v_fma_f32 v5, v1, v15, -v5
	v_fma_f32 v1, v7, v10, -v9
	v_add_co_u32 v9, vcc_lo, 0x7800, v72
	v_add_co_ci_u32_e32 v10, vcc_lo, 0, v90, vcc_lo
	v_fmac_f32_e32 v0, v6, v11
	global_load_dwordx2 v[6:7], v[9:10], off offset:384
	v_add_nc_u32_e32 v11, 0x2d80, v75
	s_waitcnt vmcnt(0)
	buffer_store_dword v6, off, s[20:23], 0 offset:8 ; 4-byte Folded Spill
	buffer_store_dword v7, off, s[20:23], 0 offset:12 ; 4-byte Folded Spill
	ds_write2_b64 v11, v[4:5], v[0:1] offset0:2 offset1:245
	global_load_dwordx2 v[0:1], v[2:3], off
	v_add_co_u32 v2, vcc_lo, v2, s12
	v_add_co_ci_u32_e32 v3, vcc_lo, s13, v3, vcc_lo
	v_mov_b32_e32 v26, v11
	v_mov_b32_e32 v232, v26
	s_waitcnt vmcnt(0)
	v_mul_f32_e32 v4, v1, v7
	v_mul_f32_e32 v5, v0, v7
	v_fmac_f32_e32 v4, v0, v6
	v_add_co_u32 v0, vcc_lo, v2, s16
	v_fma_f32 v5, v1, v6, -v5
	v_add_co_ci_u32_e32 v1, vcc_lo, s17, v3, vcc_lo
	v_add_co_u32 v6, vcc_lo, 0x8000, v72
	v_add_co_ci_u32_e32 v7, vcc_lo, 0, v90, vcc_lo
	v_add_co_u32 v9, vcc_lo, v0, s12
	v_add_co_ci_u32_e32 v10, vcc_lo, s13, v1, vcc_lo
	global_load_dwordx2 v[13:14], v[6:7], off offset:280
	s_waitcnt vmcnt(0)
	buffer_store_dword v13, off, s[20:23], 0 offset:16 ; 4-byte Folded Spill
	buffer_store_dword v14, off, s[20:23], 0 offset:20 ; 4-byte Folded Spill
	global_load_dwordx2 v[6:7], v[9:10], off
	s_waitcnt vmcnt(0)
	v_mul_f32_e32 v11, v6, v14
	v_fma_f32 v12, v7, v13, -v11
	v_mul_f32_e32 v11, v7, v14
	v_fmac_f32_e32 v11, v6, v13
	v_add_nc_u32_e32 v6, 0x7980, v75
	ds_write2_b64 v6, v[4:5], v[11:12] offset1:243
	v_add_co_u32 v4, vcc_lo, v9, s12
	v_add_co_ci_u32_e32 v5, vcc_lo, s13, v10, vcc_lo
	v_mov_b32_e32 v244, v6
	v_add_co_u32 v6, vcc_lo, 0xb800, v72
	v_add_co_ci_u32_e32 v7, vcc_lo, 0, v90, vcc_lo
	global_load_dwordx2 v[9:10], v[6:7], off offset:1496
	s_waitcnt vmcnt(0)
	buffer_store_dword v9, off, s[20:23], 0 offset:40 ; 4-byte Folded Spill
	buffer_store_dword v10, off, s[20:23], 0 offset:44 ; 4-byte Folded Spill
	global_load_dwordx2 v[2:3], v[2:3], off
	s_waitcnt vmcnt(0)
	v_mul_f32_e32 v6, v2, v10
	v_fma_f32 v7, v3, v9, -v6
	v_mul_f32_e32 v6, v3, v10
	v_fmac_f32_e32 v6, v2, v9
	v_add_co_u32 v2, vcc_lo, 0xc000, v72
	v_add_co_ci_u32_e32 v3, vcc_lo, 0, v90, vcc_lo
	global_load_dwordx2 v[9:10], v[2:3], off offset:1392
	s_waitcnt vmcnt(0)
	buffer_store_dword v9, off, s[20:23], 0 offset:32 ; 4-byte Folded Spill
	buffer_store_dword v10, off, s[20:23], 0 offset:36 ; 4-byte Folded Spill
	global_load_dwordx2 v[2:3], v[4:5], off
	v_add_nc_u32_e32 v5, 0x8880, v75
	v_mov_b32_e32 v120, v5
	s_waitcnt vmcnt(0)
	v_mul_f32_e32 v4, v2, v10
	v_fma_f32 v4, v3, v9, -v4
	v_mul_f32_e32 v3, v3, v10
	v_fmac_f32_e32 v3, v2, v9
	v_add_nc_u32_e32 v2, 0xbd80, v75
	ds_write2_b64 v2, v[6:7], v[3:4] offset0:11 offset1:254
	v_add_co_u32 v2, vcc_lo, 0x3800, v72
	v_add_co_ci_u32_e32 v3, vcc_lo, 0, v90, vcc_lo
	global_load_dwordx2 v[3:4], v[2:3], off offset:1216
	s_waitcnt vmcnt(0)
	buffer_store_dword v3, off, s[20:23], 0 offset:64 ; 4-byte Folded Spill
	buffer_store_dword v4, off, s[20:23], 0 offset:68 ; 4-byte Folded Spill
	global_load_dwordx2 v[0:1], v[0:1], off
	s_load_dwordx4 s[0:3], s[14:15], 0x0
	s_waitcnt vmcnt(0)
	v_mul_f32_e32 v2, v0, v4
	v_fma_f32 v2, v1, v3, -v2
	v_mul_f32_e32 v1, v1, v4
	v_add_nc_u32_e32 v4, 0x3c80, v75
	v_fmac_f32_e32 v1, v0, v3
	v_mov_b32_e32 v245, v4
	ds_write_b64 v75, v[1:2] offset:15552
	s_waitcnt lgkmcnt(0)
	s_waitcnt_vscnt null, 0x0
	s_barrier
	buffer_gl0_inv
	ds_read2_b64 v[9:12], v75 offset1:243
	ds_read2_b64 v[0:3], v4 offset0:8 offset1:251
	ds_read2_b64 v[13:16], v5 offset0:6 offset1:249
	ds_read_b64 v[21:22], v75 offset:50544
	ds_read2_b64 v[17:20], v246 offset0:6 offset1:249
	ds_read2_b64 v[28:31], v27 offset0:6 offset1:249
	;; [unrolled: 1-line block ×8, first 2 shown]
	ds_read2_b64 v[60:63], v244 offset1:243
	s_waitcnt lgkmcnt(11)
	v_add_f32_e32 v4, v9, v2
	s_waitcnt lgkmcnt(10)
	v_add_f32_e32 v7, v3, v14
	v_add_f32_e32 v6, v10, v3
	v_add_f32_e32 v5, v4, v13
	v_add_f32_e32 v4, v2, v13
	v_fma_f32 v10, -0.5, v7, v10
	v_mul_lo_u16 v7, v8, 3
	v_sub_f32_e32 v13, v2, v13
	v_add_f32_e32 v6, v6, v14
	v_fma_f32 v9, -0.5, v4, v9
	v_mov_b32_e32 v4, 3
	v_lshlrev_b32_sdwa v25, v4, v7 dst_sel:DWORD dst_unused:UNUSED_PAD src0_sel:DWORD src1_sel:WORD_0
	v_sub_f32_e32 v7, v3, v14
	v_fmamk_f32 v3, v13, 0xbf5db3d7, v10
	v_add_nc_u32_e32 v14, 0xb600, v75
	v_fmac_f32_e32 v10, 0x3f5db3d7, v13
	s_waitcnt lgkmcnt(6)
	v_sub_f32_e32 v13, v19, v32
	v_fmamk_f32 v2, v7, 0x3f5db3d7, v9
	v_fmac_f32_e32 v9, 0xbf5db3d7, v7
	ds_read2_b64 v[56:59], v14 offset0:8 offset1:251
	s_waitcnt lgkmcnt(0)
	s_barrier
	buffer_gl0_inv
	ds_write2_b64 v25, v[5:6], v[2:3] offset1:1
	v_add_f32_e32 v6, v18, v16
	v_add_f32_e32 v2, v11, v17
	;; [unrolled: 1-line block ×4, first 2 shown]
	v_mov_b32_e32 v236, v14
	v_fmac_f32_e32 v12, -0.5, v6
	v_add_co_u32 v6, null, 0xf3, v64
	v_add_f32_e32 v2, v2, v15
	v_sub_f32_e32 v14, v18, v16
	v_sub_f32_e32 v15, v17, v15
	v_fma_f32 v11, -0.5, v5, v11
	v_mul_u32_u24_e32 v5, 3, v6
	v_add_f32_e32 v3, v3, v16
	ds_write_b64 v25, v[9:10] offset:16
	v_fmamk_f32 v10, v15, 0xbf5db3d7, v12
	v_fmamk_f32 v9, v14, 0x3f5db3d7, v11
	v_lshlrev_b32_e32 v5, 3, v5
	v_fmac_f32_e32 v11, 0xbf5db3d7, v14
	v_fmac_f32_e32 v12, 0x3f5db3d7, v15
	v_sub_f32_e32 v7, v20, v33
	v_add_f32_e32 v14, v37, v35
	buffer_store_dword v5, off, s[20:23], 0 offset:228 ; 4-byte Folded Spill
	ds_write2_b64 v5, v[2:3], v[9:10] offset1:1
	ds_write_b64 v5, v[11:12] offset:16
	v_add_f32_e32 v5, v19, v32
	v_add_f32_e32 v10, v20, v33
	;; [unrolled: 1-line block ×4, first 2 shown]
	v_sub_f32_e32 v15, v36, v34
	v_fma_f32 v9, -0.5, v5, v28
	v_add_co_u32 v5, null, 0x1e6, v64
	v_fma_f32 v10, -0.5, v10, v29
	v_add_f32_e32 v2, v2, v32
	v_add_f32_e32 v3, v3, v33
	v_mul_u32_u24_e32 v11, 3, v5
	v_sub_f32_e32 v17, v49, v47
	v_fmamk_f32 v12, v13, 0xbf5db3d7, v10
	v_fmac_f32_e32 v10, 0x3f5db3d7, v13
	v_add_co_u32 v13, null, 0x2d9, v64
	v_lshlrev_b32_e32 v16, 3, v11
	v_fmamk_f32 v11, v7, 0x3f5db3d7, v9
	v_fmac_f32_e32 v9, 0xbf5db3d7, v7
	v_mul_u32_u24_e32 v7, 3, v13
	v_sub_f32_e32 v18, v48, v46
	buffer_store_dword v16, off, s[20:23], 0 offset:236 ; 4-byte Folded Spill
	ds_write2_b64 v16, v[2:3], v[11:12] offset1:1
	v_add_f32_e32 v11, v36, v34
	v_add_f32_e32 v2, v30, v36
	;; [unrolled: 1-line block ×3, first 2 shown]
	v_sub_f32_e32 v12, v37, v35
	v_fmac_f32_e32 v31, -0.5, v14
	v_fma_f32 v30, -0.5, v11, v30
	v_add_f32_e32 v2, v2, v34
	v_add_f32_e32 v3, v3, v35
	ds_write_b64 v16, v[9:10] offset:16
	v_lshlrev_b32_e32 v7, 3, v7
	v_fmamk_f32 v9, v12, 0x3f5db3d7, v30
	v_fmamk_f32 v10, v15, 0xbf5db3d7, v31
	v_fmac_f32_e32 v30, 0xbf5db3d7, v12
	v_fmac_f32_e32 v31, 0x3f5db3d7, v15
	buffer_store_dword v7, off, s[20:23], 0 offset:240 ; 4-byte Folded Spill
	v_sub_f32_e32 v16, v38, v44
	ds_write2_b64 v7, v[2:3], v[9:10] offset1:1
	v_add_f32_e32 v10, v39, v45
	ds_write_b64 v7, v[30:31] offset:16
	v_add_f32_e32 v7, v38, v44
	v_add_f32_e32 v2, v40, v38
	;; [unrolled: 1-line block ×3, first 2 shown]
	v_fma_f32 v12, -0.5, v10, v41
	v_add_co_u32 v10, null, 0x3cc, v64
	v_sub_f32_e32 v9, v39, v45
	v_fma_f32 v11, -0.5, v7, v40
	v_add_f32_e32 v2, v2, v44
	v_mul_u32_u24_e32 v7, 3, v10
	v_add_f32_e32 v3, v3, v45
	v_fmamk_f32 v15, v16, 0xbf5db3d7, v12
	v_fmamk_f32 v14, v9, 0x3f5db3d7, v11
	v_fmac_f32_e32 v11, 0xbf5db3d7, v9
	v_lshlrev_b32_e32 v19, 3, v7
	v_fmac_f32_e32 v12, 0x3f5db3d7, v16
	v_add_f32_e32 v7, v48, v46
	v_sub_f32_e32 v9, v51, v57
	buffer_store_dword v25, off, s[20:23], 0 offset:232 ; 4-byte Folded Spill
	ds_write2_b64 v19, v[2:3], v[14:15] offset1:1
	v_add_f32_e32 v14, v49, v47
	ds_write_b64 v19, v[11:12] offset:16
	v_add_co_u32 v11, null, 0x4bf, v64
	v_add_f32_e32 v2, v42, v48
	v_add_f32_e32 v3, v43, v49
	v_fma_f32 v42, -0.5, v7, v42
	v_fmac_f32_e32 v43, -0.5, v14
	v_mul_u32_u24_e32 v7, 3, v11
	v_add_f32_e32 v2, v2, v46
	v_add_f32_e32 v3, v3, v47
	v_fmamk_f32 v14, v17, 0x3f5db3d7, v42
	v_fmamk_f32 v15, v18, 0xbf5db3d7, v43
	v_lshlrev_b32_e32 v7, 3, v7
	v_fmac_f32_e32 v42, 0xbf5db3d7, v17
	v_fmac_f32_e32 v43, 0x3f5db3d7, v18
	v_add_f32_e32 v12, v53, v51
	v_sub_f32_e32 v18, v50, v56
	buffer_store_dword v7, off, s[20:23], 0 offset:244 ; 4-byte Folded Spill
	ds_write2_b64 v7, v[2:3], v[14:15] offset1:1
	ds_write_b64 v7, v[42:43] offset:16
	v_add_f32_e32 v7, v52, v50
	v_add_f32_e32 v2, v50, v56
	;; [unrolled: 1-line block ×4, first 2 shown]
	v_add_co_u32 v12, null, 0x5b2, v64
	v_fma_f32 v2, -0.5, v2, v52
	v_fma_f32 v3, -0.5, v3, v53
	v_add_f32_e32 v14, v7, v56
	v_mul_u32_u24_e32 v7, 3, v12
	buffer_store_dword v19, off, s[20:23], 0 offset:248 ; 4-byte Folded Spill
	v_fmamk_f32 v16, v9, 0x3f5db3d7, v2
	v_fmamk_f32 v17, v18, 0xbf5db3d7, v3
	v_sub_f32_e32 v19, v60, v58
	v_lshlrev_b32_e32 v7, 3, v7
	v_fmac_f32_e32 v2, 0xbf5db3d7, v9
	v_fmac_f32_e32 v3, 0x3f5db3d7, v18
	v_sub_f32_e32 v9, v63, v22
	v_sub_f32_e32 v18, v62, v21
	ds_write2_b64 v7, v[14:15], v[16:17] offset1:1
	v_add_f32_e32 v14, v55, v61
	v_mov_b32_e32 v20, v7
	v_add_f32_e32 v7, v54, v60
	v_sub_f32_e32 v17, v61, v59
	buffer_store_dword v190, off, s[20:23], 0 offset:224 ; 4-byte Folded Spill
	v_add_f32_e32 v16, v14, v59
	v_add_f32_e32 v14, v61, v59
	;; [unrolled: 1-line block ×4, first 2 shown]
	ds_write_b64 v20, v[2:3] offset:16
	buffer_store_dword v20, off, s[20:23], 0 offset:252 ; 4-byte Folded Spill
	v_fmac_f32_e32 v55, -0.5, v14
	v_add_co_u32 v14, null, 0x6a5, v64
	v_fma_f32 v54, -0.5, v7, v54
	v_fmamk_f32 v3, v19, 0xbf5db3d7, v55
	v_mul_u32_u24_e32 v7, 3, v14
	v_fmac_f32_e32 v55, 0x3f5db3d7, v19
	v_fmamk_f32 v2, v17, 0x3f5db3d7, v54
	v_fmac_f32_e32 v54, 0xbf5db3d7, v17
	v_lshlrev_b32_e32 v7, 3, v7
	ds_write2_b64 v7, v[15:16], v[2:3] offset1:1
	v_add_f32_e32 v15, v63, v22
	buffer_store_dword v7, off, s[20:23], 0 offset:256 ; 4-byte Folded Spill
	ds_write_b64 v7, v[54:55] offset:16
	v_add_f32_e32 v7, v62, v21
	v_add_f32_e32 v3, v1, v63
	v_fmac_f32_e32 v1, -0.5, v15
	v_add_co_u32 v15, null, 0x798, v64
	v_add_f32_e32 v2, v0, v62
	v_fma_f32 v0, -0.5, v7, v0
	v_fmamk_f32 v17, v18, 0xbf5db3d7, v1
	v_mul_u32_u24_e32 v7, 3, v15
	v_fmac_f32_e32 v1, 0x3f5db3d7, v18
	v_add_f32_e32 v2, v2, v21
	v_fmamk_f32 v16, v9, 0x3f5db3d7, v0
	v_fmac_f32_e32 v0, 0xbf5db3d7, v9
	v_lshlrev_b32_e32 v7, 3, v7
	v_add_f32_e32 v3, v3, v22
	v_mov_b32_e32 v9, 0xaaab
	ds_write_b64 v7, v[0:1] offset:16
	v_and_b32_e32 v0, 0xff, v8
	buffer_store_dword v7, off, s[20:23], 0 offset:260 ; 4-byte Folded Spill
	ds_write2_b64 v7, v[2:3], v[16:17] offset1:1
	s_waitcnt lgkmcnt(0)
	s_waitcnt_vscnt null, 0x0
	s_barrier
	v_mul_lo_u16 v1, 0xab, v0
	buffer_gl0_inv
	ds_read2_b64 v[17:20], v120 offset0:6 offset1:249
	v_lshrrev_b16 v7, 9, v1
	v_mul_u32_u24_sdwa v1, v6, v9 dst_sel:DWORD dst_unused:UNUSED_PAD src0_sel:WORD_0 src1_sel:DWORD
	v_mul_lo_u16 v2, v7, 3
	v_lshrrev_b32_e32 v1, 17, v1
	v_sub_nc_u16 v3, v8, v2
	v_mul_lo_u16 v2, v1, 3
	v_and_b32_e32 v3, 0xff, v3
	v_sub_nc_u16 v2, v6, v2
	v_lshlrev_b16 v16, 1, v2
	v_lshlrev_b32_sdwa v21, v4, v16 dst_sel:DWORD dst_unused:UNUSED_PAD src0_sel:DWORD src1_sel:WORD_0
	v_lshlrev_b32_e32 v16, 4, v3
	s_clause 0x1
	global_load_dwordx4 v[32:35], v21, s[10:11]
	global_load_dwordx4 v[22:25], v16, s[10:11]
	s_waitcnt vmcnt(1)
	buffer_store_dword v32, off, s[20:23], 0 offset:264 ; 4-byte Folded Spill
	buffer_store_dword v33, off, s[20:23], 0 offset:268 ; 4-byte Folded Spill
	;; [unrolled: 1-line block ×4, first 2 shown]
	s_waitcnt vmcnt(0) lgkmcnt(0)
	v_mul_f32_e32 v16, v18, v25
	v_mov_b32_e32 v31, v25
	v_mov_b32_e32 v30, v24
	v_mov_b32_e32 v29, v23
	v_mov_b32_e32 v28, v22
	v_fma_f32 v16, v17, v24, -v16
	v_mul_f32_e32 v17, v17, v25
	v_fmac_f32_e32 v17, v18, v24
	v_mul_f32_e32 v18, v20, v35
	v_mul_f32_e32 v27, v19, v35
	v_fma_f32 v26, v19, v34, -v18
	v_mul_u32_u24_sdwa v18, v5, v9 dst_sel:DWORD dst_unused:UNUSED_PAD src0_sel:WORD_0 src1_sel:DWORD
	v_fmac_f32_e32 v27, v20, v34
	v_lshrrev_b32_e32 v34, 17, v18
	v_mul_lo_u16 v18, v34, 3
	v_sub_nc_u16 v35, v5, v18
	v_lshlrev_b16 v18, 1, v35
	v_lshlrev_b32_sdwa v22, v4, v18 dst_sel:DWORD dst_unused:UNUSED_PAD src0_sel:DWORD src1_sel:WORD_0
	ds_read2_b64 v[18:21], v246 offset0:6 offset1:249
	s_waitcnt lgkmcnt(0)
	v_mul_f32_e32 v23, v19, v33
	v_mul_f32_e32 v37, v18, v33
	v_fma_f32 v36, v18, v32, -v23
	global_load_dwordx4 v[22:25], v22, s[10:11]
	v_fmac_f32_e32 v37, v19, v32
	v_mov_b32_e32 v32, v31
	v_mov_b32_e32 v31, v30
	;; [unrolled: 1-line block ×4, first 2 shown]
	s_waitcnt vmcnt(0)
	v_mul_f32_e32 v18, v21, v23
	v_mul_f32_e32 v39, v20, v23
	v_mov_b32_e32 v43, v25
	v_mov_b32_e32 v42, v24
	;; [unrolled: 1-line block ×3, first 2 shown]
	v_fma_f32 v38, v20, v22, -v18
	v_mul_u32_u24_sdwa v18, v13, v9 dst_sel:DWORD dst_unused:UNUSED_PAD src0_sel:WORD_0 src1_sel:DWORD
	v_fmac_f32_e32 v39, v21, v22
	v_mov_b32_e32 v40, v22
	v_lshrrev_b32_e32 v48, 17, v18
	v_mul_lo_u16 v18, v48, 3
	v_sub_nc_u16 v49, v13, v18
	v_lshlrev_b16 v18, 1, v49
	v_lshlrev_b32_sdwa v22, v4, v18 dst_sel:DWORD dst_unused:UNUSED_PAD src0_sel:DWORD src1_sel:WORD_0
	ds_read2_b64 v[18:21], v192 offset0:12 offset1:255
	s_waitcnt lgkmcnt(0)
	v_mul_f32_e32 v23, v19, v43
	v_fma_f32 v50, v18, v42, -v23
	buffer_store_dword v40, off, s[20:23], 0 offset:280 ; 4-byte Folded Spill
	buffer_store_dword v41, off, s[20:23], 0 offset:284 ; 4-byte Folded Spill
	;; [unrolled: 1-line block ×4, first 2 shown]
	v_mul_f32_e32 v51, v18, v43
	v_fmac_f32_e32 v51, v19, v42
	global_load_dwordx4 v[40:43], v22, s[10:11]
	s_waitcnt vmcnt(0)
	buffer_store_dword v40, off, s[20:23], 0 offset:296 ; 4-byte Folded Spill
	buffer_store_dword v41, off, s[20:23], 0 offset:300 ; 4-byte Folded Spill
	;; [unrolled: 1-line block ×4, first 2 shown]
	v_mul_f32_e32 v18, v21, v43
	v_mul_f32_e32 v53, v20, v43
	v_fma_f32 v52, v20, v42, -v18
	v_mul_u32_u24_sdwa v18, v10, v9 dst_sel:DWORD dst_unused:UNUSED_PAD src0_sel:WORD_0 src1_sel:DWORD
	v_fmac_f32_e32 v53, v21, v42
	v_lshrrev_b32_e32 v54, 17, v18
	v_mul_lo_u16 v18, v54, 3
	v_sub_nc_u16 v55, v10, v18
	v_lshlrev_b16 v18, 1, v55
	v_lshlrev_b32_sdwa v22, v4, v18 dst_sel:DWORD dst_unused:UNUSED_PAD src0_sel:DWORD src1_sel:WORD_0
	ds_read2_b64 v[18:21], v255 offset0:4 offset1:247
	s_waitcnt lgkmcnt(0)
	v_mul_f32_e32 v23, v19, v41
	v_mul_f32_e32 v57, v18, v41
	v_fma_f32 v56, v18, v40, -v23
	global_load_dwordx4 v[22:25], v22, s[10:11]
	v_fmac_f32_e32 v57, v19, v40
	s_waitcnt vmcnt(0)
	v_mul_f32_e32 v18, v21, v23
	v_mul_f32_e32 v59, v20, v23
	v_mov_b32_e32 v43, v25
	v_mov_b32_e32 v42, v24
	;; [unrolled: 1-line block ×3, first 2 shown]
	v_fma_f32 v58, v20, v22, -v18
	v_mul_u32_u24_sdwa v18, v11, v9 dst_sel:DWORD dst_unused:UNUSED_PAD src0_sel:WORD_0 src1_sel:DWORD
	v_fmac_f32_e32 v59, v21, v22
	v_mov_b32_e32 v40, v22
	v_lshrrev_b32_e32 v60, 17, v18
	v_mul_lo_u16 v18, v60, 3
	v_sub_nc_u16 v61, v11, v18
	v_lshlrev_b16 v18, 1, v61
	v_lshlrev_b32_sdwa v22, v4, v18 dst_sel:DWORD dst_unused:UNUSED_PAD src0_sel:DWORD src1_sel:WORD_0
	ds_read2_b64 v[18:21], v226 offset0:2 offset1:245
	s_waitcnt lgkmcnt(0)
	v_mul_f32_e32 v23, v19, v43
	v_fma_f32 v62, v18, v42, -v23
	buffer_store_dword v40, off, s[20:23], 0 offset:312 ; 4-byte Folded Spill
	buffer_store_dword v41, off, s[20:23], 0 offset:316 ; 4-byte Folded Spill
	;; [unrolled: 1-line block ×4, first 2 shown]
	v_mul_f32_e32 v63, v18, v43
	v_fmac_f32_e32 v63, v19, v42
	global_load_dwordx4 v[40:43], v22, s[10:11]
	s_waitcnt vmcnt(0)
	buffer_store_dword v40, off, s[20:23], 0 offset:328 ; 4-byte Folded Spill
	buffer_store_dword v41, off, s[20:23], 0 offset:332 ; 4-byte Folded Spill
	;; [unrolled: 1-line block ×4, first 2 shown]
	v_mul_f32_e32 v18, v21, v43
	v_mul_f32_e32 v65, v20, v43
	v_fma_f32 v64, v20, v42, -v18
	v_mul_u32_u24_sdwa v18, v12, v9 dst_sel:DWORD dst_unused:UNUSED_PAD src0_sel:WORD_0 src1_sel:DWORD
	v_fmac_f32_e32 v65, v21, v42
	v_lshrrev_b32_e32 v66, 17, v18
	v_mul_lo_u16 v18, v66, 3
	v_sub_nc_u16 v67, v12, v18
	v_lshlrev_b16 v18, 1, v67
	v_lshlrev_b32_sdwa v22, v4, v18 dst_sel:DWORD dst_unused:UNUSED_PAD src0_sel:DWORD src1_sel:WORD_0
	ds_read2_b64 v[18:21], v228 offset0:10 offset1:253
	s_waitcnt lgkmcnt(0)
	v_mul_f32_e32 v23, v19, v41
	v_mul_f32_e32 v69, v18, v41
	v_fma_f32 v68, v18, v40, -v23
	global_load_dwordx4 v[22:25], v22, s[10:11]
	v_fmac_f32_e32 v69, v19, v40
	s_waitcnt vmcnt(0)
	v_mul_f32_e32 v18, v21, v23
	v_mul_f32_e32 v71, v20, v23
	v_mov_b32_e32 v43, v25
	v_mov_b32_e32 v42, v24
	;; [unrolled: 1-line block ×3, first 2 shown]
	v_fma_f32 v70, v20, v22, -v18
	v_mul_u32_u24_sdwa v18, v14, v9 dst_sel:DWORD dst_unused:UNUSED_PAD src0_sel:WORD_0 src1_sel:DWORD
	v_fmac_f32_e32 v71, v21, v22
	v_mov_b32_e32 v40, v22
	v_mul_u32_u24_sdwa v9, v15, v9 dst_sel:DWORD dst_unused:UNUSED_PAD src0_sel:WORD_0 src1_sel:DWORD
	v_lshrrev_b32_e32 v73, 17, v18
	v_lshrrev_b32_e32 v9, 17, v9
	v_mul_lo_u16 v18, v73, 3
	v_sub_nc_u16 v74, v14, v18
	v_lshlrev_b16 v18, 1, v74
	v_lshlrev_b32_sdwa v22, v4, v18 dst_sel:DWORD dst_unused:UNUSED_PAD src0_sel:DWORD src1_sel:WORD_0
	ds_read2_b64 v[18:21], v236 offset0:8 offset1:251
	s_waitcnt lgkmcnt(0)
	v_mul_f32_e32 v23, v19, v43
	v_fma_f32 v76, v18, v42, -v23
	buffer_store_dword v40, off, s[20:23], 0 offset:368 ; 4-byte Folded Spill
	buffer_store_dword v41, off, s[20:23], 0 offset:372 ; 4-byte Folded Spill
	buffer_store_dword v42, off, s[20:23], 0 offset:376 ; 4-byte Folded Spill
	buffer_store_dword v43, off, s[20:23], 0 offset:380 ; 4-byte Folded Spill
	v_mul_f32_e32 v77, v18, v43
	v_fmac_f32_e32 v77, v19, v42
	global_load_dwordx4 v[40:43], v22, s[10:11]
	s_waitcnt vmcnt(0)
	v_mul_f32_e32 v18, v21, v43
	v_mul_f32_e32 v79, v20, v43
	v_fma_f32 v78, v20, v42, -v18
	v_mul_lo_u16 v18, v9, 3
	v_fmac_f32_e32 v79, v21, v42
	v_sub_nc_u16 v80, v15, v18
	v_lshlrev_b16 v18, 1, v80
	v_mad_u16 v9, v9, 9, v80
	v_lshlrev_b32_sdwa v22, v4, v18 dst_sel:DWORD dst_unused:UNUSED_PAD src0_sel:DWORD src1_sel:WORD_0
	ds_read2_b64 v[18:21], v244 offset1:243
	buffer_store_dword v40, off, s[20:23], 0 offset:400 ; 4-byte Folded Spill
	buffer_store_dword v41, off, s[20:23], 0 offset:404 ; 4-byte Folded Spill
	;; [unrolled: 1-line block ×4, first 2 shown]
	v_lshlrev_b32_sdwa v9, v4, v9 dst_sel:DWORD dst_unused:UNUSED_PAD src0_sel:DWORD src1_sel:WORD_0
	s_waitcnt lgkmcnt(0)
	v_mul_f32_e32 v23, v19, v41
	v_mul_f32_e32 v82, v18, v41
	v_fma_f32 v81, v18, v40, -v23
	global_load_dwordx4 v[22:25], v22, s[10:11]
	v_fmac_f32_e32 v82, v19, v40
	s_waitcnt vmcnt(0)
	v_mul_f32_e32 v18, v21, v23
	v_mul_f32_e32 v84, v20, v23
	v_mov_b32_e32 v94, v25
	v_mov_b32_e32 v93, v24
	;; [unrolled: 1-line block ×3, first 2 shown]
	v_fma_f32 v83, v20, v22, -v18
	v_mov_b32_e32 v18, 9
	v_fmac_f32_e32 v84, v21, v22
	v_mov_b32_e32 v91, v22
	v_mul_u32_u24_sdwa v7, v7, v18 dst_sel:DWORD dst_unused:UNUSED_PAD src0_sel:WORD_0 src1_sel:DWORD
	ds_read2_b64 v[18:21], v245 offset0:8 offset1:251
	buffer_store_dword v29, off, s[20:23], 0 offset:348 ; 4-byte Folded Spill
	buffer_store_dword v30, off, s[20:23], 0 offset:352 ; 4-byte Folded Spill
	;; [unrolled: 1-line block ×4, first 2 shown]
	v_add_lshl_u32 v3, v7, v3, 3
	v_sub_f32_e32 v7, v37, v27
	buffer_store_dword v3, off, s[20:23], 0 offset:344 ; 4-byte Folded Spill
	s_waitcnt lgkmcnt(0)
	v_mul_f32_e32 v22, v21, v30
	v_mul_f32_e32 v24, v20, v30
	v_fma_f32 v28, v20, v29, -v22
	v_fmac_f32_e32 v24, v21, v29
	ds_read2_b64 v[20:23], v75 offset1:243
	v_sub_f32_e32 v86, v28, v16
	v_sub_f32_e32 v85, v24, v17
	v_add_f32_e32 v29, v24, v17
	s_waitcnt lgkmcnt(0)
	v_add_f32_e32 v25, v21, v24
	v_add_f32_e32 v25, v25, v17
	;; [unrolled: 1-line block ×5, first 2 shown]
	v_fma_f32 v16, -0.5, v17, v20
	v_fma_f32 v17, -0.5, v29, v21
	ds_read_b64 v[32:33], v75 offset:50544
	ds_read2_b64 v[28:31], v191 offset0:6 offset1:249
	ds_read2_b64 v[40:43], v200 offset0:12 offset1:255
	;; [unrolled: 1-line block ×3, first 2 shown]
	s_waitcnt lgkmcnt(0)
	s_waitcnt_vscnt null, 0x0
	s_barrier
	v_fmamk_f32 v20, v85, 0x3f5db3d7, v16
	v_fmamk_f32 v21, v86, 0xbf5db3d7, v17
	v_fmac_f32_e32 v16, 0xbf5db3d7, v85
	v_fmac_f32_e32 v17, 0x3f5db3d7, v86
	buffer_gl0_inv
	ds_write2_b64 v3, v[24:25], v[20:21] offset1:3
	v_sub_f32_e32 v20, v36, v26
	ds_write_b64 v3, v[16:17] offset:48
	v_mad_u16 v3, v1, 9, v2
	v_add_f32_e32 v1, v23, v37
	v_add_f32_e32 v16, v37, v27
	;; [unrolled: 1-line block ×3, first 2 shown]
	v_lshlrev_b32_sdwa v3, v4, v3 dst_sel:DWORD dst_unused:UNUSED_PAD src0_sel:DWORD src1_sel:WORD_0
	v_add_f32_e32 v2, v1, v27
	v_add_f32_e32 v1, v22, v36
	v_fma_f32 v22, -0.5, v17, v22
	v_fmac_f32_e32 v23, -0.5, v16
	buffer_store_dword v3, off, s[20:23], 0 offset:364 ; 4-byte Folded Spill
	v_add_f32_e32 v1, v1, v26
	v_fmamk_f32 v16, v7, 0x3f5db3d7, v22
	v_fmamk_f32 v17, v20, 0xbf5db3d7, v23
	v_fmac_f32_e32 v22, 0xbf5db3d7, v7
	v_fmac_f32_e32 v23, 0x3f5db3d7, v20
	v_sub_f32_e32 v7, v39, v51
	ds_write2_b64 v3, v[1:2], v[16:17] offset1:3
	v_add_f32_e32 v1, v29, v39
	v_add_f32_e32 v17, v39, v51
	;; [unrolled: 1-line block ×3, first 2 shown]
	ds_write_b64 v3, v[22:23] offset:48
	v_mad_u16 v3, v34, 9, v35
	v_add_f32_e32 v2, v1, v51
	v_add_f32_e32 v1, v28, v38
	v_sub_f32_e32 v22, v38, v50
	v_fma_f32 v16, -0.5, v16, v28
	v_fma_f32 v17, -0.5, v17, v29
	v_lshlrev_b32_sdwa v3, v4, v3 dst_sel:DWORD dst_unused:UNUSED_PAD src0_sel:DWORD src1_sel:WORD_0
	v_add_f32_e32 v1, v1, v50
	v_fmamk_f32 v20, v7, 0x3f5db3d7, v16
	v_fmamk_f32 v21, v22, 0xbf5db3d7, v17
	v_fmac_f32_e32 v16, 0xbf5db3d7, v7
	v_fmac_f32_e32 v17, 0x3f5db3d7, v22
	buffer_store_dword v3, off, s[20:23], 0 offset:384 ; 4-byte Folded Spill
	v_sub_f32_e32 v7, v57, v53
	ds_write2_b64 v3, v[1:2], v[20:21] offset1:3
	v_add_f32_e32 v1, v31, v57
	ds_write_b64 v3, v[16:17] offset:48
	v_add_f32_e32 v16, v57, v53
	v_add_f32_e32 v17, v56, v52
	v_mad_u16 v3, v48, 9, v49
	v_add_f32_e32 v2, v1, v53
	v_add_f32_e32 v1, v30, v56
	v_sub_f32_e32 v20, v56, v52
	v_fma_f32 v30, -0.5, v17, v30
	v_fmac_f32_e32 v31, -0.5, v16
	v_lshlrev_b32_sdwa v3, v4, v3 dst_sel:DWORD dst_unused:UNUSED_PAD src0_sel:DWORD src1_sel:WORD_0
	v_add_f32_e32 v1, v1, v52
	v_sub_f32_e32 v22, v58, v62
	v_fmamk_f32 v16, v7, 0x3f5db3d7, v30
	v_fmamk_f32 v17, v20, 0xbf5db3d7, v31
	v_fmac_f32_e32 v30, 0xbf5db3d7, v7
	v_fmac_f32_e32 v31, 0x3f5db3d7, v20
	buffer_store_dword v3, off, s[20:23], 0 offset:396 ; 4-byte Folded Spill
	v_sub_f32_e32 v7, v59, v63
	ds_write2_b64 v3, v[1:2], v[16:17] offset1:3
	v_add_f32_e32 v1, v41, v59
	v_add_f32_e32 v17, v59, v63
	;; [unrolled: 1-line block ×3, first 2 shown]
	ds_write_b64 v3, v[30:31] offset:48
	v_mad_u16 v3, v54, 9, v55
	v_add_f32_e32 v2, v1, v63
	v_add_f32_e32 v1, v40, v58
	v_fma_f32 v16, -0.5, v16, v40
	v_fma_f32 v17, -0.5, v17, v41
	v_lshlrev_b32_sdwa v3, v4, v3 dst_sel:DWORD dst_unused:UNUSED_PAD src0_sel:DWORD src1_sel:WORD_0
	v_add_f32_e32 v1, v1, v62
	v_fmamk_f32 v20, v7, 0x3f5db3d7, v16
	v_fmamk_f32 v21, v22, 0xbf5db3d7, v17
	v_fmac_f32_e32 v16, 0xbf5db3d7, v7
	v_fmac_f32_e32 v17, 0x3f5db3d7, v22
	buffer_store_dword v3, off, s[20:23], 0 offset:392 ; 4-byte Folded Spill
	v_sub_f32_e32 v7, v69, v65
	ds_write2_b64 v3, v[1:2], v[20:21] offset1:3
	v_add_f32_e32 v1, v43, v69
	ds_write_b64 v3, v[16:17] offset:48
	v_add_f32_e32 v16, v69, v65
	v_add_f32_e32 v17, v68, v64
	v_mad_u16 v3, v60, 9, v61
	v_add_f32_e32 v2, v1, v65
	v_add_f32_e32 v1, v42, v68
	v_sub_f32_e32 v20, v68, v64
	v_fma_f32 v42, -0.5, v17, v42
	v_fmac_f32_e32 v43, -0.5, v16
	v_lshlrev_b32_sdwa v3, v4, v3 dst_sel:DWORD dst_unused:UNUSED_PAD src0_sel:DWORD src1_sel:WORD_0
	v_add_f32_e32 v1, v1, v64
	v_sub_f32_e32 v22, v70, v76
	v_fmamk_f32 v16, v7, 0x3f5db3d7, v42
	v_fmamk_f32 v17, v20, 0xbf5db3d7, v43
	v_fmac_f32_e32 v42, 0xbf5db3d7, v7
	v_fmac_f32_e32 v43, 0x3f5db3d7, v20
	buffer_store_dword v3, off, s[20:23], 0 offset:388 ; 4-byte Folded Spill
	v_sub_f32_e32 v7, v71, v77
	ds_write2_b64 v3, v[1:2], v[16:17] offset1:3
	v_add_f32_e32 v1, v45, v71
	v_add_f32_e32 v17, v71, v77
	;; [unrolled: 1-line block ×3, first 2 shown]
	ds_write_b64 v3, v[42:43] offset:48
	v_mad_u16 v3, v66, 9, v67
	v_add_f32_e32 v2, v1, v77
	v_add_f32_e32 v1, v44, v70
	v_fma_f32 v16, -0.5, v16, v44
	v_fma_f32 v17, -0.5, v17, v45
	v_lshlrev_b32_sdwa v3, v4, v3 dst_sel:DWORD dst_unused:UNUSED_PAD src0_sel:DWORD src1_sel:WORD_0
	v_mov_b32_e32 v45, v192
	v_add_f32_e32 v1, v1, v76
	v_fmamk_f32 v20, v7, 0x3f5db3d7, v16
	v_fmamk_f32 v21, v22, 0xbf5db3d7, v17
	v_fmac_f32_e32 v16, 0xbf5db3d7, v7
	v_fmac_f32_e32 v17, 0x3f5db3d7, v22
	v_add_f32_e32 v7, v82, v79
	buffer_store_dword v3, off, s[20:23], 0 offset:420 ; 4-byte Folded Spill
	ds_write2_b64 v3, v[1:2], v[20:21] offset1:3
	v_add_f32_e32 v1, v47, v82
	ds_write_b64 v3, v[16:17] offset:48
	v_add_f32_e32 v16, v81, v78
	v_sub_f32_e32 v3, v82, v79
	v_sub_f32_e32 v20, v81, v78
	v_add_f32_e32 v2, v1, v79
	v_add_f32_e32 v1, v46, v81
	v_fma_f32 v46, -0.5, v16, v46
	v_fmac_f32_e32 v47, -0.5, v7
	v_mad_u16 v7, v73, 9, v74
	v_mov_b32_e32 v42, v200
	v_add_f32_e32 v1, v1, v78
	v_fmamk_f32 v16, v3, 0x3f5db3d7, v46
	v_fmamk_f32 v17, v20, 0xbf5db3d7, v47
	v_lshlrev_b32_sdwa v7, v4, v7 dst_sel:DWORD dst_unused:UNUSED_PAD src0_sel:DWORD src1_sel:WORD_0
	v_fmac_f32_e32 v46, 0xbf5db3d7, v3
	v_fmac_f32_e32 v47, 0x3f5db3d7, v20
	v_mov_b32_e32 v43, v232
	buffer_store_dword v7, off, s[20:23], 0 offset:416 ; 4-byte Folded Spill
	ds_write2_b64 v7, v[1:2], v[16:17] offset1:3
	ds_write_b64 v7, v[46:47] offset:48
	buffer_store_dword v91, off, s[20:23], 0 offset:444 ; 4-byte Folded Spill
	buffer_store_dword v92, off, s[20:23], 0 offset:448 ; 4-byte Folded Spill
	;; [unrolled: 1-line block ×5, first 2 shown]
	v_mov_b32_e32 v47, v246
	v_mul_f32_e32 v1, v32, v94
	v_mul_f32_e32 v2, v33, v94
	v_fmac_f32_e32 v1, v33, v93
	v_fma_f32 v3, v32, v93, -v2
	v_add_f32_e32 v2, v19, v84
	v_sub_f32_e32 v7, v84, v1
	v_add_f32_e32 v16, v84, v1
	v_add_f32_e32 v2, v2, v1
	;; [unrolled: 1-line block ×4, first 2 shown]
	v_fmac_f32_e32 v19, -0.5, v16
	v_add_f32_e32 v1, v1, v3
	v_sub_f32_e32 v3, v83, v3
	v_fma_f32 v18, -0.5, v17, v18
	v_fmamk_f32 v17, v3, 0xbf5db3d7, v19
	v_fmamk_f32 v16, v7, 0x3f5db3d7, v18
	v_fmac_f32_e32 v18, 0xbf5db3d7, v7
	v_fmac_f32_e32 v19, 0x3f5db3d7, v3
	ds_write2_b64 v9, v[1:2], v[16:17] offset1:3
	v_mul_lo_u16 v2, v0, 57
	ds_write_b64 v9, v[18:19] offset:48
	v_mov_b32_e32 v9, 0xe38f
	s_waitcnt lgkmcnt(0)
	s_waitcnt_vscnt null, 0x0
	s_barrier
	v_lshrrev_b16 v3, 9, v2
	buffer_gl0_inv
	v_mul_u32_u24_sdwa v1, v6, v9 dst_sel:DWORD dst_unused:UNUSED_PAD src0_sel:WORD_0 src1_sel:DWORD
	ds_read2_b64 v[17:20], v120 offset0:6 offset1:249
	v_mul_lo_u16 v7, v3, 9
	v_lshrrev_b32_e32 v1, 19, v1
	v_sub_nc_u16 v7, v8, v7
	v_mul_lo_u16 v2, v1, 9
	v_and_b32_e32 v7, 0xff, v7
	v_sub_nc_u16 v2, v6, v2
	v_lshlrev_b16 v16, 4, v2
	v_and_b32_e32 v16, 0xffff, v16
	v_add_co_u32 v21, s6, s10, v16
	v_add_co_ci_u32_e64 v22, null, s11, 0, s6
	v_lshlrev_b32_e32 v16, 4, v7
	s_clause 0x1
	global_load_dwordx4 v[32:35], v[21:22], off offset:48
	global_load_dwordx4 v[23:26], v16, s[10:11] offset:48
	s_waitcnt vmcnt(1)
	buffer_store_dword v32, off, s[20:23], 0 offset:428 ; 4-byte Folded Spill
	buffer_store_dword v33, off, s[20:23], 0 offset:432 ; 4-byte Folded Spill
	;; [unrolled: 1-line block ×4, first 2 shown]
	s_waitcnt vmcnt(0) lgkmcnt(0)
	v_mul_f32_e32 v16, v18, v26
	v_mov_b32_e32 v63, v26
	v_mov_b32_e32 v62, v25
	;; [unrolled: 1-line block ×4, first 2 shown]
	v_fma_f32 v16, v17, v25, -v16
	v_mul_f32_e32 v17, v17, v26
	v_fmac_f32_e32 v17, v18, v25
	v_mul_f32_e32 v18, v20, v35
	v_mul_f32_e32 v27, v19, v35
	v_fma_f32 v26, v19, v34, -v18
	v_mul_u32_u24_sdwa v18, v5, v9 dst_sel:DWORD dst_unused:UNUSED_PAD src0_sel:WORD_0 src1_sel:DWORD
	v_fmac_f32_e32 v27, v20, v34
	v_lshrrev_b32_e32 v28, 19, v18
	v_mul_lo_u16 v18, v28, 9
	v_sub_nc_u16 v29, v5, v18
	v_lshlrev_b16 v18, 4, v29
	v_and_b32_e32 v18, 0xffff, v18
	v_add_co_u32 v22, s6, s10, v18
	ds_read2_b64 v[18:21], v246 offset0:6 offset1:249
	v_add_co_ci_u32_e64 v23, null, s11, 0, s6
	s_waitcnt lgkmcnt(0)
	v_mul_f32_e32 v24, v19, v33
	v_mul_f32_e32 v31, v18, v33
	v_fma_f32 v30, v18, v32, -v24
	global_load_dwordx4 v[22:25], v[22:23], off offset:48
	v_fmac_f32_e32 v31, v19, v32
	s_waitcnt vmcnt(0)
	v_mul_f32_e32 v18, v21, v23
	v_mul_f32_e32 v67, v20, v23
	v_mov_b32_e32 v35, v25
	v_mov_b32_e32 v34, v24
	;; [unrolled: 1-line block ×3, first 2 shown]
	v_fma_f32 v66, v20, v22, -v18
	v_mul_u32_u24_sdwa v18, v13, v9 dst_sel:DWORD dst_unused:UNUSED_PAD src0_sel:WORD_0 src1_sel:DWORD
	v_fmac_f32_e32 v67, v21, v22
	v_mov_b32_e32 v32, v22
	v_lshrrev_b32_e32 v73, 19, v18
	v_mul_lo_u16 v18, v73, 9
	v_sub_nc_u16 v74, v13, v18
	v_lshlrev_b16 v18, 4, v74
	v_and_b32_e32 v18, 0xffff, v18
	v_add_co_u32 v22, s6, s10, v18
	ds_read2_b64 v[18:21], v192 offset0:12 offset1:255
	v_add_co_ci_u32_e64 v23, null, s11, 0, s6
	s_waitcnt lgkmcnt(0)
	v_mul_f32_e32 v24, v19, v35
	v_fma_f32 v84, v18, v34, -v24
	buffer_store_dword v32, off, s[20:23], 0 offset:652 ; 4-byte Folded Spill
	buffer_store_dword v33, off, s[20:23], 0 offset:656 ; 4-byte Folded Spill
	;; [unrolled: 1-line block ×4, first 2 shown]
	v_mul_f32_e32 v85, v18, v35
	v_fmac_f32_e32 v85, v19, v34
	global_load_dwordx4 v[32:35], v[22:23], off offset:48
	s_waitcnt vmcnt(0)
	buffer_store_dword v32, off, s[20:23], 0 offset:668 ; 4-byte Folded Spill
	buffer_store_dword v33, off, s[20:23], 0 offset:672 ; 4-byte Folded Spill
	;; [unrolled: 1-line block ×4, first 2 shown]
	v_mul_f32_e32 v18, v21, v35
	v_mul_f32_e32 v87, v20, v35
	v_fma_f32 v86, v20, v34, -v18
	v_mul_u32_u24_sdwa v18, v10, v9 dst_sel:DWORD dst_unused:UNUSED_PAD src0_sel:WORD_0 src1_sel:DWORD
	v_fmac_f32_e32 v87, v21, v34
	v_lshrrev_b32_e32 v88, 19, v18
	v_mul_lo_u16 v18, v88, 9
	v_sub_nc_u16 v89, v10, v18
	v_lshlrev_b16 v18, 4, v89
	v_and_b32_e32 v18, 0xffff, v18
	v_add_co_u32 v22, s6, s10, v18
	v_add_co_ci_u32_e64 v23, null, s11, 0, s6
	ds_read2_b64 v[18:21], v255 offset0:4 offset1:247
	global_load_dwordx4 v[52:55], v[22:23], off offset:48
	s_waitcnt lgkmcnt(0)
	v_mul_f32_e32 v24, v19, v33
	v_mul_f32_e32 v92, v18, v33
	v_mov_b32_e32 v33, v191
	v_fma_f32 v91, v18, v32, -v24
	v_fmac_f32_e32 v92, v19, v32
	s_waitcnt vmcnt(0)
	v_mul_f32_e32 v18, v21, v53
	v_mul_f32_e32 v94, v20, v53
	v_fma_f32 v93, v20, v52, -v18
	v_mul_u32_u24_sdwa v18, v11, v9 dst_sel:DWORD dst_unused:UNUSED_PAD src0_sel:WORD_0 src1_sel:DWORD
	v_fmac_f32_e32 v94, v21, v52
	v_lshrrev_b32_e32 v95, 19, v18
	v_mul_lo_u16 v18, v95, 9
	v_sub_nc_u16 v96, v11, v18
	v_lshlrev_b16 v18, 4, v96
	v_and_b32_e32 v18, 0xffff, v18
	v_add_co_u32 v22, s6, s10, v18
	v_add_co_ci_u32_e64 v23, null, s11, 0, s6
	ds_read2_b64 v[18:21], v226 offset0:2 offset1:245
	global_load_dwordx4 v[56:59], v[22:23], off offset:48
	s_waitcnt lgkmcnt(0)
	v_mul_f32_e32 v24, v19, v55
	v_mul_f32_e32 v98, v18, v55
	v_fma_f32 v97, v18, v54, -v24
	v_fmac_f32_e32 v98, v19, v54
	s_waitcnt vmcnt(0)
	v_mul_f32_e32 v18, v21, v59
	v_mul_f32_e32 v100, v20, v59
	v_fma_f32 v99, v20, v58, -v18
	v_mul_u32_u24_sdwa v18, v12, v9 dst_sel:DWORD dst_unused:UNUSED_PAD src0_sel:WORD_0 src1_sel:DWORD
	v_fmac_f32_e32 v100, v21, v58
	v_lshrrev_b32_e32 v101, 19, v18
	v_mul_lo_u16 v18, v101, 9
	v_sub_nc_u16 v102, v12, v18
	v_lshlrev_b16 v18, 4, v102
	v_and_b32_e32 v18, 0xffff, v18
	v_add_co_u32 v22, s6, s10, v18
	v_add_co_ci_u32_e64 v23, null, s11, 0, s6
	ds_read2_b64 v[18:21], v228 offset0:10 offset1:253
	global_load_dwordx4 v[48:51], v[22:23], off offset:48
	s_waitcnt lgkmcnt(0)
	v_mul_f32_e32 v24, v19, v57
	v_mul_f32_e32 v104, v18, v57
	v_fma_f32 v103, v18, v56, -v24
	v_fmac_f32_e32 v104, v19, v56
	s_waitcnt vmcnt(0)
	v_mul_f32_e32 v18, v21, v49
	v_mul_f32_e32 v106, v20, v49
	v_fma_f32 v105, v20, v48, -v18
	v_mul_u32_u24_sdwa v18, v14, v9 dst_sel:DWORD dst_unused:UNUSED_PAD src0_sel:WORD_0 src1_sel:DWORD
	v_fmac_f32_e32 v106, v21, v48
	v_mul_u32_u24_sdwa v9, v15, v9 dst_sel:DWORD dst_unused:UNUSED_PAD src0_sel:WORD_0 src1_sel:DWORD
	v_lshrrev_b32_e32 v107, 19, v18
	v_lshrrev_b32_e32 v9, 19, v9
	v_mul_lo_u16 v18, v107, 9
	v_sub_nc_u16 v108, v14, v18
	v_lshlrev_b16 v18, 4, v108
	v_and_b32_e32 v18, 0xffff, v18
	v_add_co_u32 v22, s6, s10, v18
	v_add_co_ci_u32_e64 v23, null, s11, 0, s6
	ds_read2_b64 v[18:21], v236 offset0:8 offset1:251
	global_load_dwordx4 v[38:41], v[22:23], off offset:48
	s_waitcnt lgkmcnt(0)
	v_mul_f32_e32 v24, v19, v51
	v_mul_f32_e32 v110, v18, v51
	v_fma_f32 v109, v18, v50, -v24
	v_fmac_f32_e32 v110, v19, v50
	s_waitcnt vmcnt(0)
	v_mul_f32_e32 v18, v21, v41
	v_mul_f32_e32 v112, v20, v41
	v_fma_f32 v111, v20, v40, -v18
	v_mul_lo_u16 v18, v9, 9
	v_fmac_f32_e32 v112, v21, v40
	v_sub_nc_u16 v113, v15, v18
	v_lshlrev_b16 v18, 4, v113
	v_mad_u16 v9, v9, 27, v113
	v_and_b32_e32 v18, 0xffff, v18
	v_lshlrev_b32_sdwa v9, v4, v9 dst_sel:DWORD dst_unused:UNUSED_PAD src0_sel:DWORD src1_sel:WORD_0
	v_add_co_u32 v22, s6, s10, v18
	v_add_co_ci_u32_e64 v23, null, s11, 0, s6
	ds_read2_b64 v[18:21], v244 offset1:243
	global_load_dwordx4 v[34:37], v[22:23], off offset:48
	s_waitcnt lgkmcnt(0)
	v_mul_f32_e32 v24, v19, v39
	v_mul_f32_e32 v115, v18, v39
	v_fma_f32 v114, v18, v38, -v24
	v_fmac_f32_e32 v115, v19, v38
	s_waitcnt vmcnt(0)
	v_mul_f32_e32 v18, v21, v35
	v_mul_f32_e32 v117, v20, v35
	v_fma_f32 v116, v20, v34, -v18
	v_mov_b32_e32 v18, 27
	v_fmac_f32_e32 v117, v21, v34
	v_mul_u32_u24_sdwa v3, v3, v18 dst_sel:DWORD dst_unused:UNUSED_PAD src0_sel:WORD_0 src1_sel:DWORD
	ds_read2_b64 v[18:21], v245 offset0:8 offset1:251
	buffer_store_dword v60, off, s[20:23], 0 offset:464 ; 4-byte Folded Spill
	buffer_store_dword v61, off, s[20:23], 0 offset:468 ; 4-byte Folded Spill
	;; [unrolled: 1-line block ×4, first 2 shown]
	v_add_lshl_u32 v3, v3, v7, 3
	v_sub_f32_e32 v7, v31, v27
	s_waitcnt lgkmcnt(0)
	v_mul_f32_e32 v22, v21, v61
	v_mul_f32_e32 v24, v20, v61
	v_fma_f32 v64, v20, v60, -v22
	v_fmac_f32_e32 v24, v21, v60
	ds_read2_b64 v[20:23], v75 offset1:243
	v_sub_f32_e32 v119, v64, v16
	v_add_f32_e32 v65, v24, v17
	v_sub_f32_e32 v118, v24, v17
	s_waitcnt lgkmcnt(0)
	v_add_f32_e32 v25, v21, v24
	v_add_f32_e32 v25, v25, v17
	;; [unrolled: 1-line block ×5, first 2 shown]
	v_fma_f32 v16, -0.5, v17, v20
	v_fma_f32 v17, -0.5, v65, v21
	ds_read_b64 v[64:65], v75 offset:50544
	ds_read2_b64 v[68:71], v191 offset0:6 offset1:249
	ds_read2_b64 v[76:79], v200 offset0:12 offset1:255
	;; [unrolled: 1-line block ×3, first 2 shown]
	s_waitcnt lgkmcnt(0)
	s_waitcnt_vscnt null, 0x0
	s_barrier
	v_fmamk_f32 v20, v118, 0x3f5db3d7, v16
	v_fmamk_f32 v21, v119, 0xbf5db3d7, v17
	v_fmac_f32_e32 v16, 0xbf5db3d7, v118
	v_fmac_f32_e32 v17, 0x3f5db3d7, v119
	buffer_gl0_inv
	buffer_store_dword v3, off, s[20:23], 0 offset:460 ; 4-byte Folded Spill
	ds_write2_b64 v3, v[24:25], v[20:21] offset1:9
	v_sub_f32_e32 v20, v30, v26
	ds_write_b64 v3, v[16:17] offset:144
	v_mad_u16 v3, v1, 27, v2
	v_add_f32_e32 v1, v23, v31
	v_add_f32_e32 v16, v31, v27
	;; [unrolled: 1-line block ×3, first 2 shown]
	buffer_store_dword v9, off, s[20:23], 0 offset:508 ; 4-byte Folded Spill
	v_lshlrev_b32_sdwa v3, v4, v3 dst_sel:DWORD dst_unused:UNUSED_PAD src0_sel:DWORD src1_sel:WORD_0
	v_add_f32_e32 v2, v1, v27
	v_add_f32_e32 v1, v22, v30
	v_fma_f32 v22, -0.5, v17, v22
	v_fmac_f32_e32 v23, -0.5, v16
	buffer_store_dword v3, off, s[20:23], 0 offset:480 ; 4-byte Folded Spill
	v_mov_b32_e32 v30, v226
	v_add_f32_e32 v1, v1, v26
	v_fmamk_f32 v16, v7, 0x3f5db3d7, v22
	v_fmamk_f32 v17, v20, 0xbf5db3d7, v23
	v_fmac_f32_e32 v22, 0xbf5db3d7, v7
	v_fmac_f32_e32 v23, 0x3f5db3d7, v20
	v_sub_f32_e32 v7, v67, v85
	ds_write2_b64 v3, v[1:2], v[16:17] offset1:9
	v_add_f32_e32 v1, v69, v67
	v_add_f32_e32 v17, v67, v85
	;; [unrolled: 1-line block ×3, first 2 shown]
	ds_write_b64 v3, v[22:23] offset:144
	v_mad_u16 v3, v28, 27, v29
	v_add_f32_e32 v2, v1, v85
	v_add_f32_e32 v1, v68, v66
	v_sub_f32_e32 v22, v66, v84
	v_fma_f32 v16, -0.5, v16, v68
	v_fma_f32 v17, -0.5, v17, v69
	v_lshlrev_b32_sdwa v3, v4, v3 dst_sel:DWORD dst_unused:UNUSED_PAD src0_sel:DWORD src1_sel:WORD_0
	v_add_f32_e32 v1, v1, v84
	v_mov_b32_e32 v29, v120
	v_fmamk_f32 v20, v7, 0x3f5db3d7, v16
	v_fmamk_f32 v21, v22, 0xbf5db3d7, v17
	v_fmac_f32_e32 v16, 0xbf5db3d7, v7
	v_fmac_f32_e32 v17, 0x3f5db3d7, v22
	buffer_store_dword v3, off, s[20:23], 0 offset:488 ; 4-byte Folded Spill
	v_sub_f32_e32 v7, v92, v87
	ds_write2_b64 v3, v[1:2], v[20:21] offset1:9
	v_add_f32_e32 v1, v71, v92
	ds_write_b64 v3, v[16:17] offset:144
	v_add_f32_e32 v16, v92, v87
	v_add_f32_e32 v17, v91, v86
	v_mad_u16 v3, v73, 27, v74
	v_add_f32_e32 v2, v1, v87
	v_add_f32_e32 v1, v70, v91
	v_sub_f32_e32 v20, v91, v86
	v_fma_f32 v70, -0.5, v17, v70
	v_fmac_f32_e32 v71, -0.5, v16
	v_lshlrev_b32_sdwa v3, v4, v3 dst_sel:DWORD dst_unused:UNUSED_PAD src0_sel:DWORD src1_sel:WORD_0
	v_add_f32_e32 v1, v1, v86
	v_sub_f32_e32 v22, v93, v97
	v_fmamk_f32 v16, v7, 0x3f5db3d7, v70
	v_fmamk_f32 v17, v20, 0xbf5db3d7, v71
	v_fmac_f32_e32 v70, 0xbf5db3d7, v7
	v_fmac_f32_e32 v71, 0x3f5db3d7, v20
	buffer_store_dword v3, off, s[20:23], 0 offset:484 ; 4-byte Folded Spill
	v_sub_f32_e32 v7, v94, v98
	ds_write2_b64 v3, v[1:2], v[16:17] offset1:9
	v_add_f32_e32 v1, v77, v94
	v_add_f32_e32 v17, v94, v98
	;; [unrolled: 1-line block ×3, first 2 shown]
	ds_write_b64 v3, v[70:71] offset:144
	v_mad_u16 v3, v88, 27, v89
	v_add_f32_e32 v2, v1, v98
	v_add_f32_e32 v1, v76, v93
	v_fma_f32 v16, -0.5, v16, v76
	v_fma_f32 v17, -0.5, v17, v77
	v_lshlrev_b32_sdwa v3, v4, v3 dst_sel:DWORD dst_unused:UNUSED_PAD src0_sel:DWORD src1_sel:WORD_0
	v_mov_b32_e32 v32, v29
	v_add_f32_e32 v1, v1, v97
	v_fmamk_f32 v20, v7, 0x3f5db3d7, v16
	v_fmamk_f32 v21, v22, 0xbf5db3d7, v17
	v_fmac_f32_e32 v16, 0xbf5db3d7, v7
	v_fmac_f32_e32 v17, 0x3f5db3d7, v22
	buffer_store_dword v3, off, s[20:23], 0 offset:492 ; 4-byte Folded Spill
	v_sub_f32_e32 v7, v104, v100
	ds_write2_b64 v3, v[1:2], v[20:21] offset1:9
	v_add_f32_e32 v1, v79, v104
	ds_write_b64 v3, v[16:17] offset:144
	v_add_f32_e32 v16, v104, v100
	v_add_f32_e32 v17, v103, v99
	v_mad_u16 v3, v95, 27, v96
	v_add_f32_e32 v2, v1, v100
	v_add_f32_e32 v1, v78, v103
	v_sub_f32_e32 v20, v103, v99
	v_fma_f32 v78, -0.5, v17, v78
	v_fmac_f32_e32 v79, -0.5, v16
	v_lshlrev_b32_sdwa v3, v4, v3 dst_sel:DWORD dst_unused:UNUSED_PAD src0_sel:DWORD src1_sel:WORD_0
	v_add_f32_e32 v1, v1, v99
	v_sub_f32_e32 v22, v105, v109
	v_fmamk_f32 v16, v7, 0x3f5db3d7, v78
	v_fmamk_f32 v17, v20, 0xbf5db3d7, v79
	v_fmac_f32_e32 v78, 0xbf5db3d7, v7
	v_fmac_f32_e32 v79, 0x3f5db3d7, v20
	buffer_store_dword v3, off, s[20:23], 0 offset:496 ; 4-byte Folded Spill
	v_sub_f32_e32 v7, v106, v110
	ds_write2_b64 v3, v[1:2], v[16:17] offset1:9
	v_add_f32_e32 v1, v81, v106
	v_add_f32_e32 v17, v106, v110
	;; [unrolled: 1-line block ×3, first 2 shown]
	ds_write_b64 v3, v[78:79] offset:144
	v_mad_u16 v3, v101, 27, v102
	v_add_f32_e32 v2, v1, v110
	v_add_f32_e32 v1, v80, v105
	v_fma_f32 v16, -0.5, v16, v80
	v_fma_f32 v17, -0.5, v17, v81
	v_lshlrev_b32_sdwa v3, v4, v3 dst_sel:DWORD dst_unused:UNUSED_PAD src0_sel:DWORD src1_sel:WORD_0
	v_mov_b32_e32 v46, v32
	v_add_f32_e32 v1, v1, v109
	v_fmamk_f32 v20, v7, 0x3f5db3d7, v16
	v_fmamk_f32 v21, v22, 0xbf5db3d7, v17
	v_fmac_f32_e32 v16, 0xbf5db3d7, v7
	v_fmac_f32_e32 v17, 0x3f5db3d7, v22
	v_add_f32_e32 v7, v115, v112
	buffer_store_dword v3, off, s[20:23], 0 offset:504 ; 4-byte Folded Spill
	ds_write2_b64 v3, v[1:2], v[20:21] offset1:9
	v_add_f32_e32 v1, v83, v115
	ds_write_b64 v3, v[16:17] offset:144
	v_add_f32_e32 v16, v114, v111
	v_sub_f32_e32 v3, v115, v112
	v_sub_f32_e32 v20, v114, v111
	v_add_f32_e32 v2, v1, v112
	v_add_f32_e32 v1, v82, v114
	v_fma_f32 v82, -0.5, v16, v82
	v_fmac_f32_e32 v83, -0.5, v7
	v_mad_u16 v7, v107, 27, v108
	v_add_f32_e32 v1, v1, v111
	v_fmamk_f32 v16, v3, 0x3f5db3d7, v82
	v_fmamk_f32 v17, v20, 0xbf5db3d7, v83
	v_lshlrev_b32_sdwa v7, v4, v7 dst_sel:DWORD dst_unused:UNUSED_PAD src0_sel:DWORD src1_sel:WORD_0
	v_fmac_f32_e32 v82, 0xbf5db3d7, v3
	v_fmac_f32_e32 v83, 0x3f5db3d7, v20
	ds_write2_b64 v7, v[1:2], v[16:17] offset1:9
	v_mul_f32_e32 v1, v64, v37
	v_mul_f32_e32 v2, v65, v37
	buffer_store_dword v7, off, s[20:23], 0 offset:500 ; 4-byte Folded Spill
	ds_write_b64 v7, v[82:83] offset:144
	v_fmac_f32_e32 v1, v65, v36
	v_fma_f32 v3, v64, v36, -v2
	v_add_f32_e32 v2, v19, v117
	v_sub_f32_e32 v7, v117, v1
	v_add_f32_e32 v16, v117, v1
	v_add_f32_e32 v2, v2, v1
	;; [unrolled: 1-line block ×4, first 2 shown]
	v_fmac_f32_e32 v19, -0.5, v16
	v_add_f32_e32 v1, v1, v3
	v_sub_f32_e32 v3, v116, v3
	v_fma_f32 v18, -0.5, v17, v18
	v_fmamk_f32 v17, v3, 0xbf5db3d7, v19
	v_fmamk_f32 v16, v7, 0x3f5db3d7, v18
	v_fmac_f32_e32 v19, 0x3f5db3d7, v3
	v_fmac_f32_e32 v18, 0xbf5db3d7, v7
	ds_write2_b64 v9, v[1:2], v[16:17] offset1:9
	v_mov_b32_e32 v17, 0x2f69
	ds_write_b64 v9, v[18:19] offset:144
	s_waitcnt lgkmcnt(0)
	s_waitcnt_vscnt null, 0x0
	s_barrier
	buffer_gl0_inv
	v_mul_u32_u24_sdwa v1, v6, v17 dst_sel:DWORD dst_unused:UNUSED_PAD src0_sel:WORD_0 src1_sel:DWORD
	ds_read2_b64 v[18:21], v120 offset0:6 offset1:249
	ds_read2_b64 v[82:85], v246 offset0:6 offset1:249
	ds_read2_b64 v[86:89], v192 offset0:12 offset1:255
	ds_read2_b64 v[94:97], v255 offset0:4 offset1:247
	v_lshrrev_b32_e32 v1, 16, v1
	ds_read2_b64 v[98:101], v226 offset0:2 offset1:245
	ds_read2_b64 v[102:105], v228 offset0:10 offset1:253
	v_sub_nc_u16 v2, v6, v1
	v_lshrrev_b16 v2, 1, v2
	v_add_nc_u16 v1, v2, v1
	v_mul_lo_u16 v2, v0, 19
	v_mul_lo_u16 v0, 0xcb, v0
	v_lshrrev_b16 v1, 4, v1
	v_lshrrev_b16 v3, 9, v2
	v_mul_lo_u16 v2, v1, 27
	v_mul_lo_u16 v7, v3, 27
	v_sub_nc_u16 v2, v6, v2
	v_sub_nc_u16 v7, v8, v7
	v_lshlrev_b16 v9, 4, v2
	v_and_b32_e32 v7, 0xff, v7
	v_and_b32_e32 v9, 0xffff, v9
	v_add_co_u32 v22, s6, s10, v9
	v_lshlrev_b32_e32 v9, 4, v7
	v_add_co_ci_u32_e64 v23, null, s11, 0, s6
	s_clause 0x1
	global_load_dwordx4 v[68:71], v9, s[10:11] offset:192
	global_load_dwordx4 v[76:79], v[22:23], off offset:192
	s_waitcnt vmcnt(1) lgkmcnt(5)
	v_mul_f32_e32 v9, v19, v71
	v_mul_f32_e32 v16, v18, v71
	s_waitcnt vmcnt(0)
	v_mul_f32_e32 v93, v20, v79
	s_waitcnt lgkmcnt(4)
	v_mul_f32_e32 v22, v83, v77
	v_mul_f32_e32 v27, v82, v77
	v_fma_f32 v9, v18, v70, -v9
	v_mul_f32_e32 v18, v21, v79
	v_fmac_f32_e32 v16, v19, v70
	v_fmac_f32_e32 v93, v21, v78
	v_fma_f32 v26, v82, v76, -v22
	v_fmac_f32_e32 v27, v83, v76
	v_fma_f32 v23, v20, v78, -v18
	v_mul_u32_u24_sdwa v18, v5, v17 dst_sel:DWORD dst_unused:UNUSED_PAD src0_sel:WORD_0 src1_sel:DWORD
	v_lshrrev_b32_e32 v18, 16, v18
	v_sub_nc_u16 v19, v5, v18
	v_lshrrev_b16 v19, 1, v19
	v_add_nc_u16 v18, v19, v18
	v_lshrrev_b16 v20, 4, v18
	v_mul_lo_u16 v18, v20, 27
	v_sub_nc_u16 v21, v5, v18
	v_lshlrev_b16 v18, 4, v21
	v_and_b32_e32 v18, 0xffff, v18
	v_add_co_u32 v18, s6, s10, v18
	v_add_co_ci_u32_e64 v19, null, s11, 0, s6
	global_load_dwordx4 v[80:83], v[18:19], off offset:192
	s_waitcnt vmcnt(0)
	v_mul_f32_e32 v18, v85, v81
	v_mul_f32_e32 v92, v84, v81
	s_waitcnt lgkmcnt(3)
	v_mul_f32_e32 v24, v87, v83
	v_mul_f32_e32 v132, v86, v83
	v_fma_f32 v22, v84, v80, -v18
	v_mul_u32_u24_sdwa v18, v13, v17 dst_sel:DWORD dst_unused:UNUSED_PAD src0_sel:WORD_0 src1_sel:DWORD
	v_fmac_f32_e32 v92, v85, v80
	v_fma_f32 v115, v86, v82, -v24
	v_fmac_f32_e32 v132, v87, v82
	v_lshrrev_b32_e32 v18, 16, v18
	v_sub_nc_u16 v19, v13, v18
	v_lshrrev_b16 v19, 1, v19
	v_add_nc_u16 v18, v19, v18
	v_lshrrev_b16 v91, 4, v18
	v_mul_lo_u16 v18, v91, 27
	v_sub_nc_u16 v114, v13, v18
	v_lshlrev_b16 v18, 4, v114
	v_and_b32_e32 v18, 0xffff, v18
	v_add_co_u32 v18, s6, s10, v18
	v_add_co_ci_u32_e64 v19, null, s11, 0, s6
	global_load_dwordx4 v[84:87], v[18:19], off offset:192
	s_waitcnt vmcnt(0)
	v_mul_f32_e32 v18, v89, v87
	s_waitcnt lgkmcnt(2)
	v_mul_f32_e32 v136, v94, v85
	v_mul_f32_e32 v24, v95, v85
	v_fma_f32 v133, v88, v86, -v18
	v_mul_u32_u24_sdwa v18, v10, v17 dst_sel:DWORD dst_unused:UNUSED_PAD src0_sel:WORD_0 src1_sel:DWORD
	v_mul_f32_e32 v88, v88, v87
	v_fmac_f32_e32 v136, v95, v84
	v_fma_f32 v135, v94, v84, -v24
	v_lshrrev_b32_e32 v18, 16, v18
	v_fmac_f32_e32 v88, v89, v86
	v_sub_nc_u16 v19, v10, v18
	v_lshrrev_b16 v19, 1, v19
	v_add_nc_u16 v18, v19, v18
	v_lshrrev_b16 v89, 4, v18
	v_mul_lo_u16 v18, v89, 27
	v_sub_nc_u16 v134, v10, v18
	v_lshlrev_b16 v18, 4, v134
	v_and_b32_e32 v18, 0xffff, v18
	v_add_co_u32 v18, s6, s10, v18
	v_add_co_ci_u32_e64 v19, null, s11, 0, s6
	global_load_dwordx4 v[60:63], v[18:19], off offset:192
	s_waitcnt vmcnt(0)
	v_mul_f32_e32 v18, v97, v61
	v_mul_f32_e32 v137, v96, v61
	s_waitcnt lgkmcnt(1)
	v_mul_f32_e32 v24, v99, v63
	v_mul_f32_e32 v141, v98, v63
	v_fma_f32 v95, v96, v60, -v18
	v_mul_u32_u24_sdwa v18, v11, v17 dst_sel:DWORD dst_unused:UNUSED_PAD src0_sel:WORD_0 src1_sel:DWORD
	v_fmac_f32_e32 v137, v97, v60
	v_fma_f32 v140, v98, v62, -v24
	v_fmac_f32_e32 v141, v99, v62
	v_lshrrev_b32_e32 v18, 16, v18
	v_sub_nc_u16 v19, v11, v18
	v_lshrrev_b16 v19, 1, v19
	v_add_nc_u16 v18, v19, v18
	v_lshrrev_b16 v138, 4, v18
	v_mul_lo_u16 v18, v138, 27
	v_sub_nc_u16 v139, v11, v18
	v_lshlrev_b16 v18, 4, v139
	v_and_b32_e32 v18, 0xffff, v18
	v_add_co_u32 v18, s6, s10, v18
	v_add_co_ci_u32_e64 v19, null, s11, 0, s6
	global_load_dwordx4 v[96:99], v[18:19], off offset:192
	s_waitcnt vmcnt(0)
	v_mul_f32_e32 v18, v101, v99
	v_mul_f32_e32 v143, v100, v99
	s_waitcnt lgkmcnt(0)
	v_mul_f32_e32 v24, v103, v97
	v_mul_f32_e32 v147, v102, v97
	v_fma_f32 v142, v100, v98, -v18
	v_mul_u32_u24_sdwa v18, v12, v17 dst_sel:DWORD dst_unused:UNUSED_PAD src0_sel:WORD_0 src1_sel:DWORD
	v_fmac_f32_e32 v143, v101, v98
	v_fma_f32 v146, v102, v96, -v24
	v_fmac_f32_e32 v147, v103, v96
	v_lshrrev_b32_e32 v18, 16, v18
	v_sub_nc_u16 v19, v12, v18
	v_lshrrev_b16 v19, 1, v19
	v_add_nc_u16 v18, v19, v18
	v_lshrrev_b16 v144, 4, v18
	v_mul_lo_u16 v18, v144, 27
	v_sub_nc_u16 v145, v12, v18
	v_lshlrev_b16 v18, 4, v145
	v_and_b32_e32 v18, 0xffff, v18
	v_add_co_u32 v18, s6, s10, v18
	v_add_co_ci_u32_e64 v19, null, s11, 0, s6
	global_load_dwordx4 v[100:103], v[18:19], off offset:192
	s_waitcnt vmcnt(0)
	v_mul_f32_e32 v18, v105, v101
	v_mul_f32_e32 v149, v104, v101
	v_fma_f32 v148, v104, v100, -v18
	v_mul_u32_u24_sdwa v18, v14, v17 dst_sel:DWORD dst_unused:UNUSED_PAD src0_sel:WORD_0 src1_sel:DWORD
	v_fmac_f32_e32 v149, v105, v100
	ds_read2_b64 v[104:107], v236 offset0:8 offset1:251
	v_mul_u32_u24_sdwa v17, v15, v17 dst_sel:DWORD dst_unused:UNUSED_PAD src0_sel:WORD_0 src1_sel:DWORD
	v_lshrrev_b32_e32 v18, 16, v18
	v_lshrrev_b32_e32 v17, 16, v17
	v_sub_nc_u16 v19, v14, v18
	v_lshrrev_b16 v19, 1, v19
	v_add_nc_u16 v18, v19, v18
	s_waitcnt lgkmcnt(0)
	v_mul_f32_e32 v64, v105, v103
	v_mul_f32_e32 v151, v104, v103
	v_lshrrev_b16 v18, 4, v18
	v_fma_f32 v150, v104, v102, -v64
	v_fmac_f32_e32 v151, v105, v102
	v_mul_lo_u16 v19, v18, 27
	v_sub_nc_u16 v19, v14, v19
	v_lshlrev_b16 v24, 4, v19
	v_and_b32_e32 v24, 0xffff, v24
	v_add_co_u32 v24, s6, s10, v24
	v_add_co_ci_u32_e64 v25, null, s11, 0, s6
	global_load_dwordx4 v[116:119], v[24:25], off offset:192
	s_waitcnt vmcnt(0)
	v_mul_f32_e32 v24, v107, v119
	v_mul_f32_e32 v153, v106, v119
	v_fma_f32 v152, v106, v118, -v24
	v_sub_nc_u16 v24, v15, v17
	v_fmac_f32_e32 v153, v107, v118
	ds_read2_b64 v[104:107], v244 offset1:243
	v_lshrrev_b16 v24, 1, v24
	v_add_nc_u16 v17, v24, v17
	v_lshrrev_b16 v17, 4, v17
	v_mul_lo_u16 v24, v17, 27
	s_waitcnt lgkmcnt(0)
	v_mul_f32_e32 v64, v105, v117
	v_mul_f32_e32 v155, v104, v117
	v_sub_nc_u16 v94, v15, v24
	v_fma_f32 v154, v104, v116, -v64
	v_fmac_f32_e32 v155, v105, v116
	v_lshlrev_b16 v24, 4, v94
	v_and_b32_e32 v24, 0xffff, v24
	v_add_co_u32 v24, s6, s10, v24
	v_add_co_ci_u32_e64 v25, null, s11, 0, s6
	global_load_dwordx4 v[124:127], v[24:25], off offset:192
	s_waitcnt vmcnt(0)
	v_mul_f32_e32 v24, v107, v125
	v_mul_f32_e32 v157, v106, v125
	v_fma_f32 v156, v106, v124, -v24
	v_fmac_f32_e32 v157, v107, v124
	ds_read2_b64 v[104:107], v245 offset0:8 offset1:251
	v_mov_b32_e32 v24, 0x51
	v_mul_u32_u24_sdwa v3, v3, v24 dst_sel:DWORD dst_unused:UNUSED_PAD src0_sel:WORD_0 src1_sel:DWORD
	v_add_lshl_u32 v3, v3, v7, 3
	v_sub_f32_e32 v7, v27, v93
	buffer_store_dword v3, off, s[20:23], 0 offset:512 ; 4-byte Folded Spill
	s_waitcnt lgkmcnt(0)
	v_mul_f32_e32 v24, v107, v69
	v_fma_f32 v64, v106, v68, -v24
	v_mul_f32_e32 v24, v106, v69
	v_fmac_f32_e32 v24, v107, v68
	ds_read2_b64 v[106:109], v75 offset1:243
	ds_read_b64 v[73:74], v75 offset:50544
	ds_read2_b64 v[110:113], v191 offset0:6 offset1:249
	ds_read2_b64 v[120:123], v200 offset0:12 offset1:255
	;; [unrolled: 1-line block ×3, first 2 shown]
	s_waitcnt lgkmcnt(0)
	s_waitcnt_vscnt null, 0x0
	s_barrier
	v_sub_f32_e32 v158, v24, v16
	v_add_f32_e32 v65, v24, v16
	buffer_gl0_inv
	v_add_f32_e32 v25, v107, v24
	v_fma_f32 v65, -0.5, v65, v107
	v_add_f32_e32 v25, v25, v16
	v_add_f32_e32 v16, v106, v64
	;; [unrolled: 1-line block ×4, first 2 shown]
	v_sub_f32_e32 v9, v64, v9
	v_fma_f32 v64, -0.5, v16, v106
	v_fmamk_f32 v67, v9, 0xbf5db3d7, v65
	v_fmac_f32_e32 v65, 0x3f5db3d7, v9
	v_add_f32_e32 v9, v27, v93
	v_add_f32_e32 v16, v26, v23
	v_fmamk_f32 v66, v158, 0x3f5db3d7, v64
	v_fmac_f32_e32 v64, 0xbf5db3d7, v158
	ds_write2_b64 v3, v[24:25], v[66:67] offset1:27
	ds_write_b64 v3, v[64:65] offset:432
	v_mad_u16 v3, 0x51, v1, v2
	v_add_f32_e32 v1, v109, v27
	v_sub_f32_e32 v25, v26, v23
	v_fmac_f32_e32 v109, -0.5, v9
	v_add_f32_e32 v9, v92, v132
	v_lshlrev_b32_sdwa v3, v4, v3 dst_sel:DWORD dst_unused:UNUSED_PAD src0_sel:DWORD src1_sel:WORD_0
	v_add_f32_e32 v2, v1, v93
	v_add_f32_e32 v1, v108, v26
	v_fma_f32 v108, -0.5, v16, v108
	v_fmamk_f32 v24, v25, 0xbf5db3d7, v109
	v_fmac_f32_e32 v109, 0x3f5db3d7, v25
	v_add_f32_e32 v16, v22, v115
	v_add_f32_e32 v1, v1, v23
	v_fmamk_f32 v23, v7, 0x3f5db3d7, v108
	v_fmac_f32_e32 v108, 0xbf5db3d7, v7
	buffer_store_dword v3, off, s[20:23], 0 offset:516 ; 4-byte Folded Spill
	v_sub_f32_e32 v7, v92, v132
	v_mov_b32_e32 v26, 0x6523
	ds_write2_b64 v3, v[1:2], v[23:24] offset1:27
	v_add_f32_e32 v1, v111, v92
	ds_write_b64 v3, v[108:109] offset:432
	v_mad_u16 v3, 0x51, v20, v21
	v_sub_f32_e32 v24, v22, v115
	v_fma_f32 v20, -0.5, v16, v110
	v_add_f32_e32 v2, v1, v132
	v_add_f32_e32 v1, v110, v22
	v_fma_f32 v21, -0.5, v9, v111
	v_lshlrev_b32_sdwa v3, v4, v3 dst_sel:DWORD dst_unused:UNUSED_PAD src0_sel:DWORD src1_sel:WORD_0
	v_fmamk_f32 v22, v7, 0x3f5db3d7, v20
	v_fmac_f32_e32 v20, 0xbf5db3d7, v7
	v_add_f32_e32 v1, v1, v115
	v_fmamk_f32 v23, v24, 0xbf5db3d7, v21
	v_fmac_f32_e32 v21, 0x3f5db3d7, v24
	v_add_f32_e32 v9, v136, v88
	v_add_f32_e32 v16, v135, v133
	buffer_store_dword v3, off, s[20:23], 0 offset:520 ; 4-byte Folded Spill
	ds_write2_b64 v3, v[1:2], v[22:23] offset1:27
	v_add_f32_e32 v1, v113, v136
	ds_write_b64 v3, v[20:21] offset:432
	v_mad_u16 v3, 0x51, v91, v114
	v_sub_f32_e32 v7, v136, v88
	v_sub_f32_e32 v22, v135, v133
	v_add_f32_e32 v2, v1, v88
	v_add_f32_e32 v1, v112, v135
	v_fma_f32 v112, -0.5, v16, v112
	v_fmac_f32_e32 v113, -0.5, v9
	v_lshlrev_b32_sdwa v3, v4, v3 dst_sel:DWORD dst_unused:UNUSED_PAD src0_sel:DWORD src1_sel:WORD_0
	v_add_f32_e32 v9, v137, v141
	v_add_f32_e32 v1, v1, v133
	v_fmamk_f32 v20, v7, 0x3f5db3d7, v112
	v_fmamk_f32 v21, v22, 0xbf5db3d7, v113
	v_fmac_f32_e32 v112, 0xbf5db3d7, v7
	v_fmac_f32_e32 v113, 0x3f5db3d7, v22
	v_add_f32_e32 v16, v95, v140
	buffer_store_dword v3, off, s[20:23], 0 offset:524 ; 4-byte Folded Spill
	ds_write2_b64 v3, v[1:2], v[20:21] offset1:27
	v_add_f32_e32 v1, v121, v137
	ds_write_b64 v3, v[112:113] offset:432
	v_mad_u16 v3, 0x51, v89, v134
	v_sub_f32_e32 v7, v137, v141
	v_sub_f32_e32 v24, v95, v140
	v_add_f32_e32 v2, v1, v141
	v_add_f32_e32 v1, v120, v95
	v_fma_f32 v20, -0.5, v16, v120
	v_fma_f32 v21, -0.5, v9, v121
	v_lshlrev_b32_sdwa v3, v4, v3 dst_sel:DWORD dst_unused:UNUSED_PAD src0_sel:DWORD src1_sel:WORD_0
	v_mad_u16 v9, 0x51, v138, v139
	v_add_f32_e32 v1, v1, v140
	v_fmamk_f32 v22, v7, 0x3f5db3d7, v20
	v_fmamk_f32 v23, v24, 0xbf5db3d7, v21
	v_fmac_f32_e32 v20, 0xbf5db3d7, v7
	v_fmac_f32_e32 v21, 0x3f5db3d7, v24
	buffer_store_dword v3, off, s[20:23], 0 offset:528 ; 4-byte Folded Spill
	v_sub_f32_e32 v7, v147, v143
	ds_write2_b64 v3, v[1:2], v[22:23] offset1:27
	v_add_f32_e32 v1, v146, v142
	ds_write_b64 v3, v[20:21] offset:432
	v_add_f32_e32 v2, v122, v146
	v_add_f32_e32 v3, v123, v147
	v_lshlrev_b32_sdwa v9, v4, v9 dst_sel:DWORD dst_unused:UNUSED_PAD src0_sel:DWORD src1_sel:WORD_0
	v_fma_f32 v122, -0.5, v1, v122
	v_add_f32_e32 v1, v2, v142
	v_add_f32_e32 v2, v3, v143
	;; [unrolled: 1-line block ×3, first 2 shown]
	v_fmamk_f32 v20, v7, 0x3f5db3d7, v122
	v_fmac_f32_e32 v122, 0xbf5db3d7, v7
	buffer_store_dword v9, off, s[20:23], 0 offset:532 ; 4-byte Folded Spill
	v_add_f32_e32 v7, v149, v151
	v_fmac_f32_e32 v123, -0.5, v3
	v_sub_f32_e32 v3, v146, v142
	v_fmamk_f32 v21, v3, 0xbf5db3d7, v123
	v_fmac_f32_e32 v123, 0x3f5db3d7, v3
	v_sub_f32_e32 v3, v149, v151
	ds_write2_b64 v9, v[1:2], v[20:21] offset1:27
	ds_write_b64 v9, v[122:123] offset:432
	v_add_f32_e32 v9, v148, v150
	v_add_f32_e32 v1, v128, v148
	;; [unrolled: 1-line block ×3, first 2 shown]
	v_fma_f32 v21, -0.5, v7, v129
	v_sub_f32_e32 v7, v148, v150
	v_fma_f32 v20, -0.5, v9, v128
	v_mad_u16 v9, 0x51, v144, v145
	v_add_f32_e32 v1, v1, v150
	v_add_f32_e32 v2, v2, v151
	v_fmamk_f32 v23, v7, 0xbf5db3d7, v21
	v_fmamk_f32 v22, v3, 0x3f5db3d7, v20
	v_lshlrev_b32_sdwa v9, v4, v9 dst_sel:DWORD dst_unused:UNUSED_PAD src0_sel:DWORD src1_sel:WORD_0
	v_fmac_f32_e32 v20, 0xbf5db3d7, v3
	v_add_f32_e32 v3, v131, v155
	v_fmac_f32_e32 v21, 0x3f5db3d7, v7
	v_sub_f32_e32 v7, v155, v153
	ds_write2_b64 v9, v[1:2], v[22:23] offset1:27
	v_add_f32_e32 v1, v154, v152
	v_add_f32_e32 v2, v130, v154
	buffer_store_dword v9, off, s[20:23], 0 offset:536 ; 4-byte Folded Spill
	ds_write_b64 v9, v[20:21] offset:432
	v_mad_u16 v9, 0x51, v18, v19
	v_fma_f32 v130, -0.5, v1, v130
	v_add_f32_e32 v1, v2, v152
	v_add_f32_e32 v2, v3, v153
	;; [unrolled: 1-line block ×3, first 2 shown]
	v_lshlrev_b32_sdwa v9, v4, v9 dst_sel:DWORD dst_unused:UNUSED_PAD src0_sel:DWORD src1_sel:WORD_0
	v_fmamk_f32 v18, v7, 0x3f5db3d7, v130
	v_fmac_f32_e32 v130, 0xbf5db3d7, v7
	v_add_f32_e32 v7, v104, v156
	v_fmac_f32_e32 v131, -0.5, v3
	v_sub_f32_e32 v3, v154, v152
	buffer_store_dword v9, off, s[20:23], 0 offset:540 ; 4-byte Folded Spill
	v_fmamk_f32 v19, v3, 0xbf5db3d7, v131
	v_fmac_f32_e32 v131, 0x3f5db3d7, v3
	ds_write2_b64 v9, v[1:2], v[18:19] offset1:27
	v_mul_f32_e32 v1, v74, v127
	ds_write_b64 v9, v[130:131] offset:432
	v_fma_f32 v3, v73, v126, -v1
	v_mul_f32_e32 v1, v73, v127
	v_add_f32_e32 v2, v156, v3
	v_fmac_f32_e32 v1, v74, v126
	v_fma_f32 v104, -0.5, v2, v104
	v_add_f32_e32 v2, v105, v157
	v_add_f32_e32 v9, v157, v1
	v_sub_f32_e32 v18, v157, v1
	v_add_f32_e32 v2, v2, v1
	v_add_f32_e32 v1, v7, v3
	v_fmac_f32_e32 v105, -0.5, v9
	v_sub_f32_e32 v3, v156, v3
	v_mad_u16 v7, 0x51, v17, v94
	v_fmamk_f32 v16, v18, 0x3f5db3d7, v104
	v_fmac_f32_e32 v104, 0xbf5db3d7, v18
	v_fmamk_f32 v17, v3, 0xbf5db3d7, v105
	v_fmac_f32_e32 v105, 0x3f5db3d7, v3
	v_lshrrev_b16 v3, 14, v0
	v_lshlrev_b32_sdwa v7, v4, v7 dst_sel:DWORD dst_unused:UNUSED_PAD src0_sel:DWORD src1_sel:WORD_0
	v_mul_lo_u16 v0, 0x51, v3
	ds_write2_b64 v7, v[1:2], v[16:17] offset1:27
	buffer_store_dword v7, off, s[20:23], 0 offset:544 ; 4-byte Folded Spill
	ds_write_b64 v7, v[104:105] offset:432
	s_waitcnt lgkmcnt(0)
	s_waitcnt_vscnt null, 0x0
	v_sub_nc_u16 v2, v8, v0
	v_mul_u32_u24_sdwa v0, v6, v26 dst_sel:DWORD dst_unused:UNUSED_PAD src0_sel:WORD_0 src1_sel:DWORD
	s_barrier
	buffer_gl0_inv
	ds_read2_b64 v[18:21], v29 offset0:6 offset1:249
	v_and_b32_e32 v2, 0xff, v2
	v_lshrrev_b32_e32 v0, 21, v0
	ds_read2_b64 v[112:115], v246 offset0:6 offset1:249
	ds_read2_b64 v[128:131], v192 offset0:12 offset1:255
	;; [unrolled: 1-line block ×4, first 2 shown]
	v_mul_lo_u16 v1, 0x51, v0
	ds_read2_b64 v[145:148], v236 offset0:8 offset1:251
	v_sub_nc_u16 v1, v6, v1
	v_lshlrev_b16 v7, 4, v1
	v_and_b32_e32 v7, 0xffff, v7
	v_add_co_u32 v16, s6, s10, v7
	v_add_co_ci_u32_e64 v17, null, s11, 0, s6
	v_lshlrev_b32_e32 v7, 4, v2
	s_clause 0x1
	global_load_dwordx4 v[104:107], v[16:17], off offset:624
	global_load_dwordx4 v[92:95], v7, s[10:11] offset:624
	s_waitcnt vmcnt(1) lgkmcnt(5)
	v_mul_f32_e32 v9, v21, v107
	s_waitcnt vmcnt(0)
	v_mul_f32_e32 v7, v19, v95
	v_mul_f32_e32 v8, v18, v95
	v_fma_f32 v7, v18, v94, -v7
	v_fma_f32 v18, v20, v106, -v9
	v_mul_u32_u24_sdwa v9, v5, v26 dst_sel:DWORD dst_unused:UNUSED_PAD src0_sel:WORD_0 src1_sel:DWORD
	v_mul_f32_e32 v20, v20, v107
	v_fmac_f32_e32 v8, v19, v94
	v_lshrrev_b32_e32 v9, 21, v9
	v_fmac_f32_e32 v20, v21, v106
	v_mul_lo_u16 v16, 0x51, v9
	v_sub_nc_u16 v16, v5, v16
	v_lshlrev_b16 v17, 4, v16
	v_and_b32_e32 v17, 0xffff, v17
	v_add_co_u32 v21, s6, s10, v17
	v_add_co_ci_u32_e64 v22, null, s11, 0, s6
	s_waitcnt lgkmcnt(4)
	v_mul_f32_e32 v17, v113, v105
	global_load_dwordx4 v[108:111], v[21:22], off offset:624
	v_mul_u32_u24_sdwa v21, v13, v26 dst_sel:DWORD dst_unused:UNUSED_PAD src0_sel:WORD_0 src1_sel:DWORD
	v_fma_f32 v23, v112, v104, -v17
	v_mul_f32_e32 v112, v112, v105
	v_lshrrev_b32_e32 v21, 21, v21
	v_fmac_f32_e32 v112, v113, v104
	v_mul_lo_u16 v22, 0x51, v21
	v_sub_nc_u16 v22, v13, v22
	v_lshlrev_b16 v24, 4, v22
	v_and_b32_e32 v24, 0xffff, v24
	v_add_co_u32 v24, s6, s10, v24
	v_add_co_ci_u32_e64 v25, null, s11, 0, s6
	global_load_dwordx4 v[120:123], v[24:25], off offset:624
	s_waitcnt vmcnt(1)
	v_mul_f32_e32 v17, v115, v109
	v_mul_f32_e32 v19, v114, v109
	s_waitcnt lgkmcnt(3)
	v_mul_f32_e32 v27, v129, v111
	v_mul_f32_e32 v66, v128, v111
	v_fma_f32 v17, v114, v108, -v17
	v_fmac_f32_e32 v19, v115, v108
	v_fma_f32 v27, v128, v110, -v27
	v_fmac_f32_e32 v66, v129, v110
	s_waitcnt vmcnt(0)
	v_mul_f32_e32 v24, v131, v123
	v_mul_f32_e32 v73, v130, v123
	v_fma_f32 v67, v130, v122, -v24
	v_mul_u32_u24_sdwa v24, v10, v26 dst_sel:DWORD dst_unused:UNUSED_PAD src0_sel:WORD_0 src1_sel:DWORD
	v_fmac_f32_e32 v73, v131, v122
	ds_read2_b64 v[130:133], v255 offset0:4 offset1:247
	v_lshrrev_b32_e32 v113, 21, v24
	v_mul_lo_u16 v24, 0x51, v113
	v_sub_nc_u16 v114, v10, v24
	v_lshlrev_b16 v24, 4, v114
	s_waitcnt lgkmcnt(0)
	v_mul_f32_e32 v64, v131, v121
	v_mul_f32_e32 v88, v130, v121
	v_and_b32_e32 v24, 0xffff, v24
	v_fma_f32 v74, v130, v120, -v64
	v_fmac_f32_e32 v88, v131, v120
	v_add_co_u32 v24, s6, s10, v24
	v_add_co_ci_u32_e64 v25, null, s11, 0, s6
	global_load_dwordx4 v[128:131], v[24:25], off offset:624
	s_waitcnt vmcnt(0)
	v_mul_f32_e32 v24, v133, v129
	v_mul_f32_e32 v144, v132, v129
	v_mul_f32_e32 v64, v135, v131
	v_mul_f32_e32 v168, v134, v131
	v_fma_f32 v115, v132, v128, -v24
	v_mul_u32_u24_sdwa v24, v11, v26 dst_sel:DWORD dst_unused:UNUSED_PAD src0_sel:WORD_0 src1_sel:DWORD
	v_fmac_f32_e32 v144, v133, v128
	v_fma_f32 v151, v134, v130, -v64
	v_fmac_f32_e32 v168, v135, v130
	v_lshrrev_b32_e32 v89, 21, v24
	v_mul_lo_u16 v24, 0x51, v89
	v_sub_nc_u16 v91, v11, v24
	v_lshlrev_b16 v24, 4, v91
	v_and_b32_e32 v24, 0xffff, v24
	v_add_co_u32 v24, s6, s10, v24
	v_add_co_ci_u32_e64 v25, null, s11, 0, s6
	global_load_dwordx4 v[132:135], v[24:25], off offset:624
	s_waitcnt vmcnt(0)
	v_mul_f32_e32 v24, v137, v135
	v_mul_f32_e32 v170, v136, v135
	v_mul_f32_e32 v64, v139, v133
	v_mul_f32_e32 v174, v138, v133
	v_fma_f32 v169, v136, v134, -v24
	v_mul_u32_u24_sdwa v24, v12, v26 dst_sel:DWORD dst_unused:UNUSED_PAD src0_sel:WORD_0 src1_sel:DWORD
	v_fmac_f32_e32 v170, v137, v134
	v_fma_f32 v173, v138, v132, -v64
	v_fmac_f32_e32 v174, v139, v132
	v_lshrrev_b32_e32 v171, 21, v24
	v_mul_lo_u16 v24, 0x51, v171
	v_sub_nc_u16 v172, v12, v24
	v_lshlrev_b16 v24, 4, v172
	v_and_b32_e32 v24, 0xffff, v24
	;; [unrolled: 18-line block ×3, first 2 shown]
	v_add_co_u32 v24, s6, s10, v24
	v_add_co_ci_u32_e64 v25, null, s11, 0, s6
	global_load_dwordx4 v[140:143], v[24:25], off offset:624
	s_waitcnt vmcnt(0)
	v_mul_f32_e32 v24, v148, v143
	v_mul_f32_e32 v182, v147, v143
	v_fma_f32 v181, v147, v142, -v24
	v_mul_u32_u24_sdwa v24, v15, v26 dst_sel:DWORD dst_unused:UNUSED_PAD src0_sel:WORD_0 src1_sel:DWORD
	v_fmac_f32_e32 v182, v148, v142
	ds_read2_b64 v[145:148], v244 offset1:243
	v_lshrrev_b32_e32 v26, 21, v24
	v_mul_lo_u16 v24, 0x51, v26
	v_sub_nc_u16 v183, v15, v24
	v_lshlrev_b16 v24, 4, v183
	s_waitcnt lgkmcnt(0)
	v_mul_f32_e32 v64, v146, v141
	v_mul_f32_e32 v185, v145, v141
	v_and_b32_e32 v24, 0xffff, v24
	v_fma_f32 v184, v145, v140, -v64
	v_fmac_f32_e32 v185, v146, v140
	v_add_co_u32 v24, s6, s10, v24
	v_add_co_ci_u32_e64 v25, null, s11, 0, s6
	global_load_dwordx4 v[152:155], v[24:25], off offset:624
	s_waitcnt vmcnt(0)
	v_mul_f32_e32 v24, v148, v153
	v_mul_f32_e32 v187, v147, v153
	v_fma_f32 v186, v147, v152, -v24
	v_fmac_f32_e32 v187, v148, v152
	ds_read2_b64 v[145:148], v245 offset0:8 offset1:251
	v_mov_b32_e32 v24, 0xf3
	v_mul_u32_u24_sdwa v3, v3, v24 dst_sel:DWORD dst_unused:UNUSED_PAD src0_sel:WORD_0 src1_sel:DWORD
	v_add_lshl_u32 v28, v3, v2, 3
	buffer_store_dword v28, off, s[20:23], 0 offset:580 ; 4-byte Folded Spill
	s_waitcnt lgkmcnt(0)
	v_mul_f32_e32 v24, v148, v93
	v_fma_f32 v64, v147, v92, -v24
	v_mul_f32_e32 v24, v147, v93
	v_sub_f32_e32 v189, v64, v7
	v_fmac_f32_e32 v24, v148, v92
	ds_read2_b64 v[147:150], v75 offset1:243
	v_sub_f32_e32 v188, v24, v8
	v_add_f32_e32 v65, v24, v8
	s_waitcnt lgkmcnt(0)
	v_add_f32_e32 v25, v148, v24
	v_add_f32_e32 v25, v25, v8
	;; [unrolled: 1-line block ×5, first 2 shown]
	v_fma_f32 v7, -0.5, v8, v147
	v_fma_f32 v8, -0.5, v65, v148
	ds_read_b64 v[64:65], v75 offset:50544
	ds_read2_b64 v[156:159], v191 offset0:6 offset1:249
	ds_read2_b64 v[160:163], v200 offset0:12 offset1:255
	;; [unrolled: 1-line block ×3, first 2 shown]
	s_waitcnt lgkmcnt(0)
	s_waitcnt_vscnt null, 0x0
	s_barrier
	v_fmamk_f32 v2, v188, 0x3f5db3d7, v7
	v_fmamk_f32 v3, v189, 0xbf5db3d7, v8
	buffer_gl0_inv
	v_fmac_f32_e32 v7, 0xbf5db3d7, v188
	v_fmac_f32_e32 v8, 0x3f5db3d7, v189
	ds_write2_b64 v28, v[24:25], v[2:3] offset1:81
	v_mad_u16 v2, 0xf3, v0, v1
	v_add_f32_e32 v0, v150, v112
	ds_write_b64 v28, v[7:8] offset:1296
	v_add_f32_e32 v3, v112, v20
	v_add_f32_e32 v8, v23, v18
	v_sub_f32_e32 v7, v112, v20
	v_add_f32_e32 v1, v0, v20
	v_add_f32_e32 v0, v149, v23
	v_fmac_f32_e32 v150, -0.5, v3
	v_fma_f32 v149, -0.5, v8, v149
	v_lshlrev_b32_sdwa v8, v4, v2 dst_sel:DWORD dst_unused:UNUSED_PAD src0_sel:DWORD src1_sel:WORD_0
	v_add_f32_e32 v0, v0, v18
	v_sub_f32_e32 v18, v23, v18
	v_fmamk_f32 v2, v7, 0x3f5db3d7, v149
	v_fmac_f32_e32 v149, 0xbf5db3d7, v7
	v_mad_u16 v7, 0xf3, v9, v16
	v_sub_f32_e32 v9, v19, v66
	v_fmamk_f32 v3, v18, 0xbf5db3d7, v150
	v_fmac_f32_e32 v150, 0x3f5db3d7, v18
	v_sub_f32_e32 v16, v17, v27
	buffer_store_dword v8, off, s[20:23], 0 offset:548 ; 4-byte Folded Spill
	ds_write2_b64 v8, v[0:1], v[2:3] offset1:81
	v_add_f32_e32 v0, v157, v19
	v_add_f32_e32 v3, v19, v66
	v_add_f32_e32 v2, v17, v27
	ds_write_b64 v8, v[149:150] offset:1296
	v_add_f32_e32 v1, v0, v66
	v_add_f32_e32 v0, v156, v17
	v_fma_f32 v2, -0.5, v2, v156
	v_fma_f32 v3, -0.5, v3, v157
	v_lshlrev_b32_sdwa v17, v4, v7 dst_sel:DWORD dst_unused:UNUSED_PAD src0_sel:DWORD src1_sel:WORD_0
	v_add_f32_e32 v0, v0, v27
	v_fmamk_f32 v7, v9, 0x3f5db3d7, v2
	v_fmamk_f32 v8, v16, 0xbf5db3d7, v3
	v_fmac_f32_e32 v2, 0xbf5db3d7, v9
	v_fmac_f32_e32 v3, 0x3f5db3d7, v16
	v_sub_f32_e32 v9, v74, v67
	v_sub_f32_e32 v16, v115, v151
	ds_write2_b64 v17, v[0:1], v[7:8] offset1:81
	v_add_f32_e32 v0, v159, v88
	ds_write_b64 v17, v[2:3] offset:1296
	v_add_f32_e32 v3, v88, v73
	v_add_f32_e32 v8, v74, v67
	v_mad_u16 v2, 0xf3, v21, v22
	v_sub_f32_e32 v7, v88, v73
	v_add_f32_e32 v1, v0, v73
	v_add_f32_e32 v0, v158, v74
	v_fma_f32 v158, -0.5, v8, v158
	v_fmac_f32_e32 v159, -0.5, v3
	v_lshlrev_b32_sdwa v8, v4, v2 dst_sel:DWORD dst_unused:UNUSED_PAD src0_sel:DWORD src1_sel:WORD_0
	buffer_store_dword v17, off, s[20:23], 0 offset:552 ; 4-byte Folded Spill
	v_add_f32_e32 v0, v0, v67
	v_fmamk_f32 v2, v7, 0x3f5db3d7, v158
	v_fmamk_f32 v3, v9, 0xbf5db3d7, v159
	v_fmac_f32_e32 v158, 0xbf5db3d7, v7
	v_fmac_f32_e32 v159, 0x3f5db3d7, v9
	v_mad_u16 v7, 0xf3, v113, v114
	v_sub_f32_e32 v9, v144, v168
	ds_write2_b64 v8, v[0:1], v[2:3] offset1:81
	v_add_f32_e32 v0, v161, v144
	v_add_f32_e32 v3, v144, v168
	;; [unrolled: 1-line block ×3, first 2 shown]
	buffer_store_dword v8, off, s[20:23], 0 offset:556 ; 4-byte Folded Spill
	ds_write_b64 v8, v[158:159] offset:1296
	v_add_f32_e32 v1, v0, v168
	v_add_f32_e32 v0, v160, v115
	v_fma_f32 v2, -0.5, v2, v160
	v_fma_f32 v3, -0.5, v3, v161
	v_lshlrev_b32_sdwa v17, v4, v7 dst_sel:DWORD dst_unused:UNUSED_PAD src0_sel:DWORD src1_sel:WORD_0
	v_add_f32_e32 v0, v0, v151
	v_fmamk_f32 v7, v9, 0x3f5db3d7, v2
	v_fmamk_f32 v8, v16, 0xbf5db3d7, v3
	v_fmac_f32_e32 v2, 0xbf5db3d7, v9
	v_fmac_f32_e32 v3, 0x3f5db3d7, v16
	v_mad_u16 v9, 0xf3, v89, v91
	buffer_store_dword v17, off, s[20:23], 0 offset:560 ; 4-byte Folded Spill
	ds_write2_b64 v17, v[0:1], v[7:8] offset1:81
	v_add_f32_e32 v0, v173, v169
	ds_write_b64 v17, v[2:3] offset:1296
	v_add_f32_e32 v1, v162, v173
	v_add_f32_e32 v2, v163, v174
	v_sub_f32_e32 v7, v174, v170
	v_fma_f32 v162, -0.5, v0, v162
	v_sub_f32_e32 v8, v173, v169
	v_add_f32_e32 v0, v1, v169
	v_add_f32_e32 v1, v2, v170
	;; [unrolled: 1-line block ×3, first 2 shown]
	v_lshlrev_b32_sdwa v9, v4, v9 dst_sel:DWORD dst_unused:UNUSED_PAD src0_sel:DWORD src1_sel:WORD_0
	v_sub_f32_e32 v16, v175, v179
	v_mad_u16 v17, 0xf3, v171, v172
	v_fmac_f32_e32 v163, -0.5, v2
	v_fmamk_f32 v2, v7, 0x3f5db3d7, v162
	v_fmac_f32_e32 v162, 0xbf5db3d7, v7
	buffer_store_dword v9, off, s[20:23], 0 offset:564 ; 4-byte Folded Spill
	v_lshlrev_b32_sdwa v17, v4, v17 dst_sel:DWORD dst_unused:UNUSED_PAD src0_sel:DWORD src1_sel:WORD_0
	v_fmamk_f32 v3, v8, 0xbf5db3d7, v163
	v_fmac_f32_e32 v163, 0x3f5db3d7, v8
	buffer_store_dword v17, off, s[20:23], 0 offset:568 ; 4-byte Folded Spill
	ds_write2_b64 v9, v[0:1], v[2:3] offset1:81
	v_add_f32_e32 v3, v176, v180
	v_add_f32_e32 v2, v175, v179
	ds_write_b64 v9, v[162:163] offset:1296
	v_add_f32_e32 v0, v164, v175
	v_add_f32_e32 v1, v165, v176
	v_sub_f32_e32 v9, v176, v180
	v_fma_f32 v2, -0.5, v2, v164
	v_fma_f32 v3, -0.5, v3, v165
	v_add_f32_e32 v0, v0, v179
	v_add_f32_e32 v1, v1, v180
	v_fmamk_f32 v7, v9, 0x3f5db3d7, v2
	v_fmamk_f32 v8, v16, 0xbf5db3d7, v3
	v_fmac_f32_e32 v2, 0xbf5db3d7, v9
	v_fmac_f32_e32 v3, 0x3f5db3d7, v16
	v_mad_u16 v9, 0xf3, v177, v178
	ds_write2_b64 v17, v[0:1], v[7:8] offset1:81
	v_add_f32_e32 v0, v184, v181
	ds_write_b64 v17, v[2:3] offset:1296
	v_add_f32_e32 v1, v166, v184
	v_add_f32_e32 v2, v167, v185
	v_sub_f32_e32 v7, v185, v182
	v_fma_f32 v166, -0.5, v0, v166
	v_sub_f32_e32 v8, v184, v181
	v_add_f32_e32 v0, v1, v181
	v_add_f32_e32 v1, v2, v182
	;; [unrolled: 1-line block ×3, first 2 shown]
	v_lshlrev_b32_sdwa v9, v4, v9 dst_sel:DWORD dst_unused:UNUSED_PAD src0_sel:DWORD src1_sel:WORD_0
	v_fmac_f32_e32 v167, -0.5, v2
	v_fmamk_f32 v2, v7, 0x3f5db3d7, v166
	v_fmac_f32_e32 v166, 0xbf5db3d7, v7
	v_add_f32_e32 v7, v146, v187
	buffer_store_dword v9, off, s[20:23], 0 offset:572 ; 4-byte Folded Spill
	v_fmamk_f32 v3, v8, 0xbf5db3d7, v167
	v_fmac_f32_e32 v167, 0x3f5db3d7, v8
	ds_write2_b64 v9, v[0:1], v[2:3] offset1:81
	v_mul_f32_e32 v0, v65, v155
	v_mul_f32_e32 v3, v64, v155
	v_add_f32_e32 v1, v145, v186
	ds_write_b64 v9, v[166:167] offset:1296
	v_mad_u16 v9, 0xf3, v26, v183
	v_fma_f32 v2, v64, v154, -v0
	v_fmac_f32_e32 v3, v65, v154
	v_lshlrev_b32_sdwa v9, v4, v9 dst_sel:DWORD dst_unused:UNUSED_PAD src0_sel:DWORD src1_sel:WORD_0
	v_add_f32_e32 v0, v186, v2
	v_sub_f32_e32 v8, v187, v3
	buffer_store_dword v9, off, s[20:23], 0 offset:576 ; 4-byte Folded Spill
	v_fma_f32 v145, -0.5, v0, v145
	v_add_f32_e32 v0, v1, v2
	v_add_f32_e32 v1, v7, v3
	;; [unrolled: 1-line block ×3, first 2 shown]
	v_fmac_f32_e32 v146, -0.5, v7
	v_sub_f32_e32 v7, v186, v2
	v_fmamk_f32 v2, v8, 0x3f5db3d7, v145
	v_fmac_f32_e32 v145, 0xbf5db3d7, v8
	v_fmamk_f32 v3, v7, 0xbf5db3d7, v146
	v_fmac_f32_e32 v146, 0x3f5db3d7, v7
	v_lshlrev_b32_e32 v7, 4, v190
	ds_write2_b64 v9, v[0:1], v[2:3] offset1:81
	ds_write_b64 v9, v[145:146] offset:1296
	s_waitcnt lgkmcnt(0)
	s_waitcnt_vscnt null, 0x0
	s_barrier
	buffer_gl0_inv
	global_load_dwordx4 v[112:115], v7, s[10:11] offset:1920
	ds_read2_b64 v[0:3], v29 offset0:6 offset1:249
	ds_read2_b64 v[144:147], v245 offset0:8 offset1:251
	s_waitcnt vmcnt(0) lgkmcnt(1)
	v_mul_f32_e32 v8, v1, v115
	v_mul_f32_e32 v9, v2, v115
	v_fma_f32 v17, v0, v114, -v8
	v_mul_f32_e32 v0, v0, v115
	v_fmac_f32_e32 v9, v3, v114
	v_fmac_f32_e32 v0, v1, v114
	v_mul_f32_e32 v1, v3, v115
	v_fma_f32 v8, v2, v114, -v1
	v_mov_b32_e32 v1, 0xdb3
	v_mul_u32_u24_sdwa v2, v5, v1 dst_sel:DWORD dst_unused:UNUSED_PAD src0_sel:WORD_0 src1_sel:DWORD
	v_lshrrev_b32_e32 v2, 16, v2
	v_sub_nc_u16 v3, v5, v2
	v_lshrrev_b16 v3, 1, v3
	v_add_nc_u16 v19, v3, v2
	v_mul_u32_u24_sdwa v2, v13, v1 dst_sel:DWORD dst_unused:UNUSED_PAD src0_sel:WORD_0 src1_sel:DWORD
	v_lshrrev_b32_e32 v2, 16, v2
	v_sub_nc_u16 v3, v13, v2
	v_lshrrev_b16 v3, 1, v3
	v_add_nc_u16 v20, v3, v2
	;; [unrolled: 5-line block ×5, first 2 shown]
	v_mul_u32_u24_sdwa v2, v14, v1 dst_sel:DWORD dst_unused:UNUSED_PAD src0_sel:WORD_0 src1_sel:DWORD
	v_mul_u32_u24_sdwa v1, v15, v1 dst_sel:DWORD dst_unused:UNUSED_PAD src0_sel:WORD_0 src1_sel:DWORD
	v_lshrrev_b32_e32 v2, 16, v2
	v_lshrrev_b32_e32 v1, 16, v1
	v_sub_nc_u16 v3, v14, v2
	v_lshrrev_b16 v3, 1, v3
	v_add_nc_u16 v24, v3, v2
	v_sub_nc_u16 v2, v15, v1
	v_lshrrev_b16 v2, 1, v2
	v_add_nc_u16 v25, v2, v1
	s_waitcnt lgkmcnt(0)
	v_mul_f32_e32 v1, v147, v113
	v_mul_f32_e32 v2, v146, v113
	v_fma_f32 v1, v146, v112, -v1
	v_fmac_f32_e32 v2, v147, v112
	ds_read2_b64 v[146:149], v75 offset1:243
	v_sub_f32_e32 v18, v1, v17
	v_sub_f32_e32 v16, v2, v0
	v_add_f32_e32 v26, v2, v0
	s_waitcnt lgkmcnt(0)
	v_add_f32_e32 v3, v147, v2
	v_add_f32_e32 v3, v3, v0
	v_add_f32_e32 v0, v146, v1
	v_add_f32_e32 v2, v0, v17
	v_add_f32_e32 v0, v1, v17
	v_lshrrev_b16 v17, 7, v19
	v_lshrrev_b16 v19, 7, v20
	;; [unrolled: 1-line block ×5, first 2 shown]
	v_fma_f32 v1, -0.5, v26, v147
	v_mul_lo_u16 v19, 0xf3, v19
	v_lshrrev_b16 v23, 7, v24
	v_mul_lo_u16 v20, 0xf3, v20
	v_mul_lo_u16 v22, 0xf3, v22
	;; [unrolled: 1-line block ×3, first 2 shown]
	v_sub_nc_u16 v26, v13, v19
	v_mul_lo_u16 v23, 0xf3, v23
	v_sub_nc_u16 v27, v10, v20
	v_sub_nc_u16 v20, v12, v22
	;; [unrolled: 1-line block ×3, first 2 shown]
	v_lshlrev_b16 v22, 4, v26
	v_sub_nc_u16 v19, v14, v23
	v_mul_lo_u16 v17, 0xf3, v17
	v_lshrrev_b16 v24, 7, v25
	v_fma_f32 v0, -0.5, v0, v146
	v_and_b32_e32 v23, 0xffff, v22
	v_lshlrev_b16 v22, 4, v27
	v_sub_nc_u16 v25, v5, v17
	v_mul_lo_u16 v24, 0xf3, v24
	v_fmamk_f32 v224, v16, 0x3f5db3d7, v0
	v_fmamk_f32 v225, v18, 0xbf5db3d7, v1
	v_and_b32_e32 v64, 0xffff, v22
	v_lshlrev_b16 v22, 4, v88
	v_lshlrev_b16 v21, 4, v25
	v_sub_nc_u16 v17, v15, v24
	v_fmac_f32_e32 v0, 0xbf5db3d7, v16
	v_fmac_f32_e32 v1, 0x3f5db3d7, v18
	v_and_b32_e32 v66, 0xffff, v22
	v_lshlrev_b16 v22, 4, v20
	v_and_b32_e32 v21, 0xffff, v21
	v_lshlrev_b32_sdwa v25, v4, v25 dst_sel:DWORD dst_unused:UNUSED_PAD src0_sel:DWORD src1_sel:WORD_0
	v_lshlrev_b32_e32 v13, 4, v13
	v_lshlrev_b32_e32 v10, 4, v10
	v_and_b32_e32 v73, 0xffff, v22
	v_lshlrev_b16 v22, 4, v19
	v_add_co_u32 v21, s6, s10, v21
	v_add_nc_u32_e32 v29, 0x2d80, v25
	v_mov_b32_e32 v28, v25
	v_and_b32_e32 v89, 0xffff, v22
	v_lshlrev_b16 v22, 4, v17
	v_and_b32_e32 v91, 0xffff, v22
	v_add_co_ci_u32_e64 v22, null, s11, 0, s6
	v_add_co_u32 v23, s6, s10, v23
	v_add_co_ci_u32_e64 v24, null, s11, 0, s6
	v_add_co_u32 v64, s6, s10, v64
	;; [unrolled: 2-line block ×6, first 2 shown]
	v_add_co_ci_u32_e64 v151, null, s11, 0, s6
	s_clause 0x6
	global_load_dwordx4 v[160:163], v[21:22], off offset:1920
	global_load_dwordx4 v[164:167], v[23:24], off offset:1920
	;; [unrolled: 1-line block ×7, first 2 shown]
	ds_read_b64 v[21:22], v75 offset:50544
	ds_read2_b64 v[156:159], v246 offset0:6 offset1:249
	ds_read2_b64 v[188:191], v191 offset0:6 offset1:249
	;; [unrolled: 1-line block ×9, first 2 shown]
	ds_read2_b64 v[220:223], v244 offset1:243
	s_waitcnt vmcnt(0) lgkmcnt(0)
	s_barrier
	buffer_gl0_inv
	ds_write2_b64 v75, v[2:3], v[224:225] offset1:243
	buffer_store_dword v29, off, s[20:23], 0 offset:584 ; 4-byte Folded Spill
	buffer_store_dword v28, off, s[20:23], 0 offset:620 ; 4-byte Folded Spill
	v_mul_f32_e32 v2, v157, v113
	v_mul_f32_e32 v24, v156, v113
	v_fma_f32 v23, v156, v112, -v2
	v_fmac_f32_e32 v24, v157, v112
	v_add_f32_e32 v2, v148, v23
	v_add_f32_e32 v3, v149, v24
	;; [unrolled: 1-line block ×4, first 2 shown]
	ds_write2_b64 v33, v[0:1], v[2:3] offset0:6 offset1:249
	v_add_f32_e32 v2, v23, v8
	v_add_f32_e32 v0, v24, v9
	v_sub_f32_e32 v1, v24, v9
	v_fma_f32 v148, -0.5, v2, v148
	v_sub_f32_e32 v2, v23, v8
	v_fmac_f32_e32 v149, -0.5, v0
	v_fmamk_f32 v0, v1, 0x3f5db3d7, v148
	v_fmac_f32_e32 v148, 0xbf5db3d7, v1
	v_fmamk_f32 v1, v2, 0xbf5db3d7, v149
	v_fmac_f32_e32 v149, 0x3f5db3d7, v2
	ds_write2_b64 v42, v[0:1], v[148:149] offset0:12 offset1:255
	v_mul_f32_e32 v0, v159, v161
	v_mul_f32_e32 v8, v195, v167
	;; [unrolled: 1-line block ×5, first 2 shown]
	v_fma_f32 v2, v158, v160, -v0
	v_fma_f32 v16, v194, v166, -v8
	v_mul_f32_e32 v8, v197, v165
	v_mul_f32_e32 v0, v158, v161
	v_fma_f32 v3, v192, v162, -v1
	v_mul_f32_e32 v1, v192, v163
	v_fmac_f32_e32 v24, v197, v164
	v_fma_f32 v23, v196, v164, -v8
	v_mul_f32_e32 v8, v199, v169
	v_fmac_f32_e32 v0, v159, v160
	v_fmac_f32_e32 v1, v193, v162
	v_sub_f32_e32 v193, v2, v3
	v_fmac_f32_e32 v18, v195, v166
	v_fma_f32 v64, v198, v168, -v8
	v_mul_f32_e32 v8, v205, v171
	v_sub_f32_e32 v192, v0, v1
	v_add_f32_e32 v9, v0, v1
	v_mul_f32_e32 v65, v198, v169
	v_mul_f32_e32 v67, v204, v171
	v_fma_f32 v66, v204, v170, -v8
	v_mul_f32_e32 v8, v207, v175
	v_sub_f32_e32 v25, v24, v18
	v_fmac_f32_e32 v65, v199, v168
	v_fmac_f32_e32 v67, v205, v170
	v_mul_f32_e32 v91, v208, v173
	v_fma_f32 v73, v206, v174, -v8
	v_mul_f32_e32 v8, v209, v173
	v_mul_f32_e32 v74, v206, v175
	;; [unrolled: 1-line block ×3, first 2 shown]
	v_fmac_f32_e32 v91, v209, v172
	v_mul_f32_e32 v149, v216, v179
	v_fma_f32 v89, v208, v172, -v8
	v_mul_f32_e32 v8, v211, v177
	v_fmac_f32_e32 v74, v207, v174
	v_fmac_f32_e32 v147, v211, v176
	;; [unrolled: 1-line block ×3, first 2 shown]
	v_mul_f32_e32 v157, v220, v181
	v_fma_f32 v146, v210, v176, -v8
	v_mul_f32_e32 v8, v217, v179
	v_mul_f32_e32 v151, v218, v183
	;; [unrolled: 1-line block ×3, first 2 shown]
	v_fmac_f32_e32 v157, v221, v180
	v_fma_f32 v148, v216, v178, -v8
	v_mul_f32_e32 v8, v219, v183
	v_fmac_f32_e32 v151, v219, v182
	v_fmac_f32_e32 v159, v223, v184
	v_fma_f32 v150, v218, v182, -v8
	v_mul_f32_e32 v8, v221, v181
	v_fma_f32 v156, v220, v180, -v8
	v_mul_f32_e32 v8, v223, v185
	v_fma_f32 v158, v222, v184, -v8
	v_add_f32_e32 v8, v189, v0
	v_add_f32_e32 v0, v188, v2
	;; [unrolled: 1-line block ×5, first 2 shown]
	v_fma_f32 v3, -0.5, v9, v189
	v_fma_f32 v2, -0.5, v8, v188
	v_fmamk_f32 v9, v193, 0xbf5db3d7, v3
	v_fmac_f32_e32 v3, 0x3f5db3d7, v193
	v_fmamk_f32 v8, v192, 0x3f5db3d7, v2
	v_fmac_f32_e32 v2, 0xbf5db3d7, v192
	ds_write2_b64 v29, v[0:1], v[8:9] offset0:2 offset1:245
	v_add_f32_e32 v0, v191, v24
	v_add_f32_e32 v8, v24, v18
	;; [unrolled: 1-line block ×3, first 2 shown]
	ds_write_b64 v28, v[2:3] offset:15552
	v_add_nc_u32_e32 v28, 0xbd80, v75
	v_add_f32_e32 v1, v0, v18
	v_add_f32_e32 v0, v190, v23
	v_fma_f32 v190, -0.5, v9, v190
	v_fmac_f32_e32 v191, -0.5, v8
	v_lshlrev_b32_sdwa v18, v4, v26 dst_sel:DWORD dst_unused:UNUSED_PAD src0_sel:DWORD src1_sel:WORD_0
	v_sub_f32_e32 v26, v64, v66
	v_add_f32_e32 v0, v0, v16
	v_sub_f32_e32 v16, v23, v16
	v_fmamk_f32 v8, v25, 0x3f5db3d7, v190
	v_add_nc_u32_e32 v23, 0x4400, v18
	v_fmac_f32_e32 v190, 0xbf5db3d7, v25
	v_sub_f32_e32 v25, v65, v67
	v_fmamk_f32 v9, v16, 0xbf5db3d7, v191
	v_fmac_f32_e32 v191, 0x3f5db3d7, v16
	v_lshlrev_b32_sdwa v16, v4, v27 dst_sel:DWORD dst_unused:UNUSED_PAD src0_sel:DWORD src1_sel:WORD_0
	buffer_store_dword v18, off, s[20:23], 0 offset:588 ; 4-byte Folded Spill
	buffer_store_dword v23, off, s[20:23], 0 offset:592 ; 4-byte Folded Spill
	ds_write2_b64 v23, v[0:1], v[8:9] offset0:11 offset1:254
	v_add_f32_e32 v9, v65, v67
	v_add_f32_e32 v8, v64, v66
	;; [unrolled: 1-line block ×4, first 2 shown]
	ds_write_b64 v18, v[190:191] offset:21384
	v_fma_f32 v9, -0.5, v9, v201
	v_fma_f32 v8, -0.5, v8, v200
	v_add_f32_e32 v0, v0, v66
	v_add_f32_e32 v1, v1, v67
	v_add_nc_u32_e32 v18, 0x5b00, v16
	v_fmamk_f32 v24, v26, 0xbf5db3d7, v9
	v_fmamk_f32 v23, v25, 0x3f5db3d7, v8
	v_mov_b32_e32 v29, v16
	v_add_f32_e32 v16, v203, v91
	buffer_store_dword v18, off, s[20:23], 0 offset:596 ; 4-byte Folded Spill
	v_lshlrev_b32_sdwa v27, v4, v88 dst_sel:DWORD dst_unused:UNUSED_PAD src0_sel:DWORD src1_sel:WORD_0
	ds_write2_b64 v18, v[0:1], v[23:24] offset0:4 offset1:247
	v_add_f32_e32 v0, v89, v73
	v_add_f32_e32 v1, v202, v89
	v_sub_f32_e32 v18, v91, v74
	v_add_nc_u32_e32 v31, 0x71c0, v27
	buffer_store_dword v27, off, s[20:23], 0 offset:600 ; 4-byte Folded Spill
	v_fma_f32 v202, -0.5, v0, v202
	v_add_f32_e32 v0, v1, v73
	v_add_f32_e32 v1, v16, v74
	;; [unrolled: 1-line block ×3, first 2 shown]
	v_sub_f32_e32 v66, v146, v148
	v_fmamk_f32 v23, v18, 0x3f5db3d7, v202
	v_fmac_f32_e32 v202, 0xbf5db3d7, v18
	v_add_f32_e32 v18, v146, v148
	v_fmac_f32_e32 v203, -0.5, v16
	v_sub_f32_e32 v16, v89, v73
	buffer_store_dword v31, off, s[20:23], 0 offset:604 ; 4-byte Folded Spill
	v_fmac_f32_e32 v8, 0xbf5db3d7, v25
	v_fmac_f32_e32 v9, 0x3f5db3d7, v26
	buffer_store_dword v29, off, s[20:23], 0 offset:624 ; 4-byte Folded Spill
	v_fmamk_f32 v24, v16, 0xbf5db3d7, v203
	v_fmac_f32_e32 v203, 0x3f5db3d7, v16
	v_add_f32_e32 v16, v147, v149
	ds_write_b64 v29, v[8:9] offset:27216
	v_mov_b32_e32 v29, v228
	ds_write2_b64 v31, v[0:1], v[23:24] offset0:5 offset1:248
	ds_write_b64 v27, v[202:203] offset:33048
	v_add_f32_e32 v0, v212, v146
	v_add_f32_e32 v1, v213, v147
	v_sub_f32_e32 v27, v147, v149
	v_fma_f32 v23, -0.5, v18, v212
	v_fma_f32 v24, -0.5, v16, v213
	v_lshlrev_b32_sdwa v16, v4, v20 dst_sel:DWORD dst_unused:UNUSED_PAD src0_sel:DWORD src1_sel:WORD_0
	v_add_f32_e32 v0, v0, v148
	v_add_f32_e32 v1, v1, v149
	v_fmamk_f32 v64, v27, 0x3f5db3d7, v23
	v_fmamk_f32 v65, v66, 0xbf5db3d7, v24
	v_add_nc_u32_e32 v18, 0x8880, v16
	v_mov_b32_e32 v31, v16
	v_add_f32_e32 v16, v215, v157
	v_sub_f32_e32 v20, v157, v151
	v_fmac_f32_e32 v23, 0xbf5db3d7, v27
	ds_write2_b64 v18, v[0:1], v[64:65] offset0:6 offset1:249
	v_add_f32_e32 v0, v156, v150
	v_add_f32_e32 v1, v214, v156
	v_lshlrev_b32_sdwa v64, v4, v19 dst_sel:DWORD dst_unused:UNUSED_PAD src0_sel:DWORD src1_sel:WORD_0
	buffer_store_dword v18, off, s[20:23], 0 offset:608 ; 4-byte Folded Spill
	v_fmac_f32_e32 v24, 0x3f5db3d7, v66
	v_fma_f32 v214, -0.5, v0, v214
	v_add_f32_e32 v0, v1, v150
	v_add_f32_e32 v1, v16, v151
	;; [unrolled: 1-line block ×3, first 2 shown]
	v_add_nc_u32_e32 v65, 0x9f40, v64
	v_fmamk_f32 v18, v20, 0x3f5db3d7, v214
	v_fmac_f32_e32 v214, 0xbf5db3d7, v20
	v_lshlrev_b32_sdwa v20, v4, v17 dst_sel:DWORD dst_unused:UNUSED_PAD src0_sel:DWORD src1_sel:WORD_0
	v_fmac_f32_e32 v215, -0.5, v16
	v_sub_f32_e32 v16, v156, v150
	buffer_store_dword v31, off, s[20:23], 0 offset:628 ; 4-byte Folded Spill
	buffer_store_dword v64, off, s[20:23], 0 offset:612 ; 4-byte Folded Spill
	;; [unrolled: 1-line block ×4, first 2 shown]
	v_fmamk_f32 v19, v16, 0xbf5db3d7, v215
	v_fmac_f32_e32 v215, 0x3f5db3d7, v16
	ds_write_b64 v31, v[23:24] offset:38880
	v_mov_b32_e32 v23, 0x6799
	v_mov_b32_e32 v31, v236
	ds_write2_b64 v65, v[0:1], v[18:19] offset0:7 offset1:250
	v_mul_f32_e32 v0, v22, v187
	v_mul_f32_e32 v18, v21, v187
	v_add_f32_e32 v1, v144, v158
	v_add_f32_e32 v19, v145, v159
	ds_write_b64 v64, v[214:215] offset:44712
	v_fma_f32 v16, v21, v186, -v0
	v_fmac_f32_e32 v18, v22, v186
	v_add_nc_u32_e32 v21, 0xb600, v20
	v_mul_u32_u24_sdwa v24, v12, v23 dst_sel:DWORD dst_unused:UNUSED_PAD src0_sel:WORD_0 src1_sel:DWORD
	v_add_f32_e32 v0, v158, v16
	buffer_store_dword v21, off, s[20:23], 0 offset:636 ; 4-byte Folded Spill
	v_lshrrev_b32_e32 v24, 16, v24
	v_fma_f32 v144, -0.5, v0, v144
	v_add_f32_e32 v0, v1, v16
	v_add_f32_e32 v1, v19, v18
	;; [unrolled: 1-line block ×3, first 2 shown]
	v_sub_f32_e32 v18, v159, v18
	v_sub_nc_u16 v25, v12, v24
	v_fmac_f32_e32 v145, -0.5, v19
	v_sub_f32_e32 v19, v158, v16
	v_fmamk_f32 v16, v18, 0x3f5db3d7, v144
	v_fmac_f32_e32 v144, 0xbf5db3d7, v18
	v_lshrrev_b16 v25, 1, v25
	v_fmamk_f32 v17, v19, 0xbf5db3d7, v145
	v_fmac_f32_e32 v145, 0x3f5db3d7, v19
	v_add_nc_u16 v24, v25, v24
	v_mul_u32_u24_sdwa v25, v14, v23 dst_sel:DWORD dst_unused:UNUSED_PAD src0_sel:WORD_0 src1_sel:DWORD
	ds_write2_b64 v21, v[0:1], v[16:17] offset0:8 offset1:251
	v_lshlrev_b32_e32 v0, 4, v6
	v_add_co_u32 v6, s6, s10, v7
	v_add_co_ci_u32_e64 v7, null, s11, 0, s6
	v_add_co_u32 v0, s6, s10, v0
	v_add_co_u32 v2, vcc_lo, 0x1000, v6
	v_add_co_ci_u32_e32 v3, vcc_lo, 0, v7, vcc_lo
	v_add_co_ci_u32_e64 v1, null, s11, 0, s6
	v_add_co_u32 v8, vcc_lo, 0x1000, v0
	ds_write_b64 v20, v[144:145] offset:50544
	s_waitcnt lgkmcnt(0)
	s_waitcnt_vscnt null, 0x0
	s_barrier
	buffer_gl0_inv
	v_add_co_ci_u32_e32 v9, vcc_lo, 0, v1, vcc_lo
	global_load_dwordx4 v[144:147], v[2:3], off offset:1712
	ds_read2_b64 v[16:19], v32 offset0:6 offset1:249
	ds_read2_b64 v[188:191], v246 offset0:6 offset1:249
	global_load_dwordx4 v[148:151], v[8:9], off offset:1712
	v_lshrrev_b32_e32 v25, 16, v25
	v_mul_u32_u24_sdwa v23, v15, v23 dst_sel:DWORD dst_unused:UNUSED_PAD src0_sel:WORD_0 src1_sel:DWORD
	ds_read2_b64 v[193:196], v75 offset1:243
	v_sub_nc_u16 v27, v14, v25
	v_lshrrev_b32_e32 v23, 16, v23
	v_lshrrev_b16 v27, 1, v27
	v_add_nc_u16 v27, v27, v25
	v_sub_nc_u16 v25, v15, v23
	v_lshrrev_b16 v25, 1, v25
	v_add_nc_u16 v88, v25, v23
	v_lshrrev_b16 v23, 9, v24
	v_mul_lo_u16 v23, 0x2d9, v23
	v_sub_nc_u16 v89, v12, v23
	v_lshlrev_b16 v23, 4, v89
	v_and_b32_e32 v23, 0xffff, v23
	s_waitcnt vmcnt(1) lgkmcnt(2)
	v_mul_f32_e32 v2, v17, v147
	v_mul_f32_e32 v26, v16, v147
	s_waitcnt vmcnt(0) lgkmcnt(1)
	v_mul_f32_e32 v192, v188, v149
	v_mul_f32_e32 v20, v18, v151
	v_fma_f32 v22, v16, v146, -v2
	v_mul_f32_e32 v2, v19, v151
	v_fmac_f32_e32 v26, v17, v146
	v_fmac_f32_e32 v192, v189, v148
	;; [unrolled: 1-line block ×3, first 2 shown]
	v_fma_f32 v17, v18, v150, -v2
	v_lshlrev_b32_e32 v2, 4, v5
	v_mul_f32_e32 v5, v189, v149
	v_add_co_u32 v2, s6, s10, v2
	v_add_co_ci_u32_e64 v3, null, s11, 0, s6
	v_fma_f32 v21, v188, v148, -v5
	v_add_co_u32 v8, vcc_lo, 0x1000, v2
	v_add_co_ci_u32_e32 v9, vcc_lo, 0, v3, vcc_lo
	v_add_co_u32 v23, s6, s10, v23
	v_add_co_ci_u32_e64 v25, null, s11, 0, s6
	global_load_dwordx4 v[156:159], v[8:9], off offset:1712
	v_add_co_u32 v24, vcc_lo, 0x1000, v23
	v_lshrrev_b16 v23, 9, v27
	v_add_co_ci_u32_e32 v25, vcc_lo, 0, v25, vcc_lo
	v_mul_lo_u16 v23, 0x2d9, v23
	v_sub_nc_u16 v23, v14, v23
	v_lshlrev_b16 v27, 4, v23
	v_and_b32_e32 v27, 0xffff, v27
	v_add_co_u32 v27, s6, s10, v27
	v_add_co_ci_u32_e64 v65, null, s11, 0, s6
	v_add_co_u32 v64, vcc_lo, 0x1000, v27
	v_add_co_ci_u32_e32 v65, vcc_lo, 0, v65, vcc_lo
	s_waitcnt vmcnt(0)
	v_mul_f32_e32 v5, v191, v157
	v_mul_f32_e32 v16, v190, v157
	v_fma_f32 v9, v190, v156, -v5
	v_fmac_f32_e32 v16, v191, v156
	ds_read2_b64 v[188:191], v45 offset0:12 offset1:255
	s_waitcnt lgkmcnt(0)
	v_mul_f32_e32 v5, v189, v159
	v_mul_f32_e32 v19, v188, v159
	;; [unrolled: 1-line block ×3, first 2 shown]
	v_fma_f32 v18, v188, v158, -v5
	v_mul_f32_e32 v5, v191, v147
	v_fmac_f32_e32 v19, v189, v158
	v_fmac_f32_e32 v8, v191, v146
	v_fma_f32 v5, v190, v146, -v5
	ds_read2_b64 v[188:191], v245 offset0:8 offset1:251
	s_waitcnt lgkmcnt(0)
	v_mul_f32_e32 v66, v190, v145
	v_mul_f32_e32 v27, v191, v145
	v_fmac_f32_e32 v66, v191, v144
	v_fma_f32 v27, v190, v144, -v27
	v_add_f32_e32 v67, v194, v66
	v_sub_f32_e32 v91, v66, v26
	v_add_f32_e32 v74, v66, v26
	v_add_f32_e32 v67, v67, v26
	;; [unrolled: 1-line block ×3, first 2 shown]
	v_fma_f32 v74, -0.5, v74, v194
	v_add_f32_e32 v66, v26, v22
	v_add_f32_e32 v26, v27, v22
	v_sub_f32_e32 v27, v27, v22
	v_lshrrev_b16 v22, 9, v88
	v_fma_f32 v73, -0.5, v26, v193
	v_fmamk_f32 v194, v27, 0xbf5db3d7, v74
	v_mul_lo_u16 v22, 0x2d9, v22
	v_fmac_f32_e32 v74, 0x3f5db3d7, v27
	v_add_f32_e32 v27, v196, v192
	v_fmamk_f32 v193, v91, 0x3f5db3d7, v73
	v_fmac_f32_e32 v73, 0xbf5db3d7, v91
	v_sub_nc_u16 v22, v15, v22
	v_lshlrev_b16 v26, 4, v22
	v_and_b32_e32 v26, 0xffff, v26
	v_add_co_u32 v26, s6, s10, v26
	v_add_co_ci_u32_e64 v88, null, s11, 0, s6
	v_add_co_u32 v13, s6, s10, v13
	v_add_co_u32 v190, vcc_lo, 0x1000, v26
	v_add_co_ci_u32_e32 v191, vcc_lo, 0, v88, vcc_lo
	s_clause 0x2
	global_load_dwordx4 v[204:207], v[24:25], off offset:1712
	global_load_dwordx4 v[216:219], v[64:65], off offset:1712
	;; [unrolled: 1-line block ×3, first 2 shown]
	ds_read_b64 v[24:25], v75 offset:50544
	ds_read2_b64 v[197:200], v33 offset0:6 offset1:249
	ds_read2_b64 v[208:211], v255 offset0:4 offset1:247
	;; [unrolled: 1-line block ×3, first 2 shown]
	v_add_f32_e32 v26, v195, v21
	v_add_f32_e32 v65, v27, v20
	v_add_f32_e32 v27, v21, v17
	ds_read2_b64 v[224:227], v226 offset0:2 offset1:245
	ds_read2_b64 v[228:231], v228 offset0:10 offset1:253
	v_add_f32_e32 v64, v26, v17
	v_sub_f32_e32 v26, v192, v20
	v_add_f32_e32 v20, v192, v20
	v_fma_f32 v195, -0.5, v27, v195
	v_sub_f32_e32 v17, v21, v17
	ds_read2_b64 v[232:235], v232 offset0:2 offset1:245
	ds_read2_b64 v[236:239], v236 offset0:8 offset1:251
	ds_read2_b64 v[240:243], v244 offset1:243
	v_fmac_f32_e32 v196, -0.5, v20
	v_fmamk_f32 v20, v26, 0x3f5db3d7, v195
	v_fmac_f32_e32 v195, 0xbf5db3d7, v26
	s_waitcnt vmcnt(0) lgkmcnt(0)
	s_barrier
	v_fmamk_f32 v21, v17, 0xbf5db3d7, v196
	v_fmac_f32_e32 v196, 0x3f5db3d7, v17
	v_add_f32_e32 v17, v197, v9
	v_add_f32_e32 v26, v198, v16
	buffer_gl0_inv
	ds_write_b64 v75, v[193:194] offset:5832
	ds_write_b64 v75, v[73:74] offset:11664
	ds_write2_b64 v75, v[66:67], v[64:65] offset1:243
	v_add_f32_e32 v64, v17, v18
	v_add_f32_e32 v65, v26, v19
	v_sub_f32_e32 v26, v16, v19
	v_add_f32_e32 v17, v16, v19
	v_add_f32_e32 v16, v9, v18
	v_sub_f32_e32 v9, v9, v18
	ds_write_b64 v75, v[195:196] offset:13608
	ds_write_b64 v75, v[64:65] offset:3888
	v_fma_f32 v17, -0.5, v17, v198
	v_fma_f32 v16, -0.5, v16, v197
	v_mul_f32_e32 v74, v226, v159
	v_mul_f32_e32 v192, v210, v149
	;; [unrolled: 1-line block ×3, first 2 shown]
	v_fmamk_f32 v19, v9, 0xbf5db3d7, v17
	v_fmamk_f32 v18, v26, 0x3f5db3d7, v16
	v_fmac_f32_e32 v74, v227, v158
	v_fmac_f32_e32 v192, v211, v148
	;; [unrolled: 1-line block ×4, first 2 shown]
	ds_write2_b64 v42, v[20:21], v[18:19] offset0:12 offset1:255
	v_mul_f32_e32 v18, v209, v145
	v_mul_f32_e32 v21, v227, v159
	v_sub_f32_e32 v65, v192, v194
	v_fmac_f32_e32 v17, 0x3f5db3d7, v9
	v_fma_f32 v19, v208, v144, -v18
	v_fma_f32 v67, v226, v158, -v21
	v_add_f32_e32 v18, v19, v5
	v_add_f32_e32 v27, v199, v19
	v_fma_f32 v199, -0.5, v18, v199
	v_mul_f32_e32 v18, v208, v145
	v_fmac_f32_e32 v18, v209, v144
	v_add_f32_e32 v20, v18, v8
	v_add_f32_e32 v66, v200, v18
	v_fmac_f32_e32 v200, -0.5, v20
	v_mul_f32_e32 v20, v229, v157
	v_fma_f32 v20, v228, v156, -v20
	v_add_f32_e32 v21, v20, v67
	v_add_f32_e32 v73, v214, v20
	v_sub_f32_e32 v190, v20, v67
	v_fma_f32 v214, -0.5, v21, v214
	v_mul_f32_e32 v21, v228, v157
	v_fmac_f32_e32 v21, v229, v156
	v_add_f32_e32 v64, v21, v74
	v_add_f32_e32 v88, v215, v21
	v_sub_f32_e32 v91, v21, v74
	v_fmac_f32_e32 v215, -0.5, v64
	v_sub_f32_e32 v64, v18, v8
	v_fmamk_f32 v20, v91, 0x3f5db3d7, v214
	v_fmac_f32_e32 v214, 0xbf5db3d7, v91
	v_fmamk_f32 v21, v190, 0xbf5db3d7, v215
	v_fmamk_f32 v18, v64, 0x3f5db3d7, v199
	v_fmac_f32_e32 v199, 0xbf5db3d7, v64
	v_sub_f32_e32 v64, v19, v5
	v_fmac_f32_e32 v215, 0x3f5db3d7, v190
	v_add_f32_e32 v190, v213, v192
	v_fmamk_f32 v19, v64, 0xbf5db3d7, v200
	v_fmac_f32_e32 v200, 0x3f5db3d7, v64
	v_add_f32_e32 v9, v190, v194
	ds_write2_b64 v29, v[20:21], v[199:200] offset0:10 offset1:253
	v_mul_f32_e32 v20, v211, v149
	v_add_f32_e32 v21, v192, v194
	v_fma_f32 v191, v210, v148, -v20
	v_mul_f32_e32 v20, v225, v151
	v_fma_f32 v21, -0.5, v21, v213
	v_add_f32_e32 v91, v212, v191
	v_fma_f32 v193, v224, v150, -v20
	v_mov_b32_e32 v224, v244
	v_sub_f32_e32 v209, v191, v193
	v_mov_b32_e32 v44, v224
	v_mul_f32_e32 v20, v231, v205
	v_mul_f32_e32 v196, v230, v205
	;; [unrolled: 1-line block ×5, first 2 shown]
	v_fma_f32 v195, v230, v204, -v20
	v_mul_f32_e32 v20, v237, v207
	v_fmac_f32_e32 v196, v231, v204
	v_fmac_f32_e32 v198, v237, v206
	;; [unrolled: 1-line block ×4, first 2 shown]
	v_fma_f32 v197, v236, v206, -v20
	v_mul_f32_e32 v20, v239, v219
	v_mul_f32_e32 v208, v242, v221
	v_fma_f32 v199, v238, v218, -v20
	v_mul_f32_e32 v20, v241, v217
	v_fmac_f32_e32 v208, v243, v220
	v_fma_f32 v201, v240, v216, -v20
	v_mul_f32_e32 v20, v243, v221
	v_fma_f32 v203, v242, v220, -v20
	v_add_f32_e32 v20, v191, v193
	v_fma_f32 v20, -0.5, v20, v212
	v_fmamk_f32 v64, v65, 0x3f5db3d7, v20
	v_fmac_f32_e32 v20, 0xbf5db3d7, v65
	v_fmamk_f32 v65, v209, 0xbf5db3d7, v21
	v_fmac_f32_e32 v21, 0x3f5db3d7, v209
	ds_write2_b64 v244, v[20:21], v[214:215] offset1:243
	v_add_f32_e32 v20, v27, v5
	v_add_f32_e32 v21, v66, v8
	ds_write2_b64 v245, v[16:17], v[20:21] offset0:8 offset1:251
	ds_write2_b64 v255, v[18:19], v[64:65] offset0:4 offset1:247
	v_add_f32_e32 v8, v91, v193
	v_add_f32_e32 v16, v73, v67
	;; [unrolled: 1-line block ×4, first 2 shown]
	v_mul_f32_e32 v18, v25, v223
	v_lshlrev_b32_sdwa v65, v4, v89 dst_sel:DWORD dst_unused:UNUSED_PAD src0_sel:DWORD src1_sel:WORD_0
	v_add_f32_e32 v20, v234, v201
	ds_write2_b64 v246, v[8:9], v[16:17] offset0:6 offset1:249
	v_fma_f32 v8, -0.5, v5, v232
	v_sub_f32_e32 v5, v196, v198
	v_fma_f32 v26, v24, v222, -v18
	v_mul_f32_e32 v24, v24, v223
	v_add_f32_e32 v21, v235, v202
	v_lshlrev_b32_sdwa v66, v4, v23 dst_sel:DWORD dst_unused:UNUSED_PAD src0_sel:DWORD src1_sel:WORD_0
	v_fmamk_f32 v16, v5, 0x3f5db3d7, v8
	v_fmac_f32_e32 v8, 0xbf5db3d7, v5
	v_add_f32_e32 v5, v196, v198
	v_fmac_f32_e32 v24, v25, v222
	v_add_f32_e32 v18, v203, v26
	v_add_f32_e32 v25, v188, v203
	;; [unrolled: 1-line block ×3, first 2 shown]
	v_fma_f32 v9, -0.5, v5, v233
	v_sub_f32_e32 v5, v195, v197
	v_fma_f32 v188, -0.5, v18, v188
	v_sub_f32_e32 v19, v208, v24
	v_add_f32_e32 v27, v189, v208
	v_sub_f32_e32 v64, v203, v26
	v_fmamk_f32 v17, v5, 0xbf5db3d7, v9
	v_fmac_f32_e32 v9, 0x3f5db3d7, v5
	v_add_f32_e32 v5, v201, v199
	v_fmamk_f32 v18, v19, 0x3f5db3d7, v188
	v_fmac_f32_e32 v188, 0xbf5db3d7, v19
	v_add_f32_e32 v19, v208, v24
	ds_write_b64 v65, v[8:9] offset:46656
	v_fma_f32 v234, -0.5, v5, v234
	v_sub_f32_e32 v5, v202, v200
	buffer_store_dword v65, off, s[20:23], 0 offset:648 ; 4-byte Folded Spill
	v_fmac_f32_e32 v189, -0.5, v19
	v_add_f32_e32 v20, v20, v199
	v_add_f32_e32 v21, v21, v200
	v_fmamk_f32 v8, v5, 0x3f5db3d7, v234
	v_fmac_f32_e32 v234, 0xbf5db3d7, v5
	v_add_f32_e32 v5, v202, v200
	v_fmamk_f32 v19, v64, 0xbf5db3d7, v189
	v_fmac_f32_e32 v189, 0x3f5db3d7, v64
	v_lshlrev_b32_sdwa v64, v4, v22 dst_sel:DWORD dst_unused:UNUSED_PAD src0_sel:DWORD src1_sel:WORD_0
	v_add_f32_e32 v22, v25, v26
	v_fmac_f32_e32 v235, -0.5, v5
	v_sub_f32_e32 v5, v201, v199
	v_fmamk_f32 v9, v5, 0xbf5db3d7, v235
	v_fmac_f32_e32 v235, 0x3f5db3d7, v5
	v_add_f32_e32 v5, v232, v195
	ds_write_b64 v66, v[234:235] offset:46656
	v_add_f32_e32 v4, v5, v197
	v_add_f32_e32 v5, v23, v198
	ds_write_b64 v64, v[188:189] offset:46656
	ds_write_b64 v65, v[4:5] offset:34992
	;; [unrolled: 1-line block ×3, first 2 shown]
	v_add_co_u32 v4, vcc_lo, 0x4000, v6
	v_add_f32_e32 v23, v27, v24
	v_add_co_ci_u32_e32 v5, vcc_lo, 0, v7, vcc_lo
	buffer_store_dword v66, off, s[20:23], 0 offset:644 ; 4-byte Folded Spill
	ds_write_b64 v66, v[20:21] offset:34992
	ds_write_b64 v66, v[8:9] offset:40824
	buffer_store_dword v64, off, s[20:23], 0 offset:640 ; 4-byte Folded Spill
	ds_write_b64 v64, v[22:23] offset:34992
	ds_write_b64 v64, v[18:19] offset:40824
	s_waitcnt lgkmcnt(0)
	s_waitcnt_vscnt null, 0x0
	s_barrier
	buffer_gl0_inv
	global_load_dwordx4 v[196:199], v[4:5], off offset:1088
	v_add_co_u32 v0, vcc_lo, 0x4000, v0
	v_add_co_ci_u32_e32 v1, vcc_lo, 0, v1, vcc_lo
	ds_read2_b64 v[236:239], v245 offset0:8 offset1:251
	ds_read2_b64 v[20:23], v75 offset1:243
	global_load_dwordx4 v[192:195], v[0:1], off offset:1088
	ds_read2_b64 v[4:7], v32 offset0:6 offset1:249
	v_add_nc_u32_e32 v32, 0xae80, v75
	s_waitcnt vmcnt(1) lgkmcnt(0)
	v_mul_f32_e32 v8, v5, v199
	v_mul_f32_e32 v9, v4, v199
	v_fma_f32 v8, v4, v198, -v8
	v_add_co_u32 v4, vcc_lo, 0x4000, v2
	v_fmac_f32_e32 v9, v5, v198
	v_add_co_ci_u32_e32 v5, vcc_lo, 0, v3, vcc_lo
	s_waitcnt vmcnt(0)
	v_mul_f32_e32 v0, v7, v195
	v_mul_f32_e32 v17, v6, v195
	global_load_dwordx4 v[188:191], v[4:5], off offset:1088
	v_fma_f32 v16, v6, v194, -v0
	ds_read2_b64 v[0:3], v246 offset0:6 offset1:249
	v_fmac_f32_e32 v17, v7, v194
	s_waitcnt lgkmcnt(0)
	v_mul_f32_e32 v6, v1, v193
	v_mul_f32_e32 v25, v0, v193
	v_fma_f32 v24, v0, v192, -v6
	v_fmac_f32_e32 v25, v1, v192
	v_mul_f32_e32 v1, v238, v197
	v_fmac_f32_e32 v1, v239, v196
	v_sub_f32_e32 v6, v1, v9
	s_waitcnt vmcnt(0)
	v_mul_f32_e32 v0, v3, v189
	v_mul_f32_e32 v19, v2, v189
	v_fma_f32 v18, v2, v188, -v0
	v_mul_f32_e32 v0, v239, v197
	v_add_f32_e32 v2, v21, v1
	v_add_f32_e32 v1, v1, v9
	v_fmac_f32_e32 v19, v3, v188
	v_fma_f32 v0, v238, v196, -v0
	v_add_f32_e32 v5, v2, v9
	v_fma_f32 v1, -0.5, v1, v21
	v_add_f32_e32 v2, v20, v0
	v_sub_f32_e32 v7, v0, v8
	v_add_f32_e32 v4, v2, v8
	v_add_f32_e32 v2, v0, v8
	v_fmamk_f32 v3, v7, 0xbf5db3d7, v1
	v_fmac_f32_e32 v1, 0x3f5db3d7, v7
	v_fma_f32 v0, -0.5, v2, v20
	v_fmamk_f32 v2, v6, 0x3f5db3d7, v0
	v_fmac_f32_e32 v0, 0xbf5db3d7, v6
	ds_write_b64 v75, v[2:3] offset:17496
	ds_write_b64 v75, v[0:1] offset:34992
	v_add_f32_e32 v0, v22, v24
	v_add_f32_e32 v1, v23, v25
	;; [unrolled: 1-line block ×4, first 2 shown]
	ds_read_b64 v[8:9], v75 offset:50544
	ds_read2_b64 v[208:211], v45 offset0:12 offset1:255
	ds_read2_b64 v[246:249], v33 offset0:6 offset1:249
	;; [unrolled: 1-line block ×8, first 2 shown]
	ds_read2_b64 v[250:253], v224 offset1:243
	ds_write2_b64 v75, v[4:5], v[6:7] offset1:243
	v_add_f32_e32 v4, v25, v17
	v_sub_f32_e32 v5, v25, v17
	v_add_f32_e32 v6, v24, v16
	v_sub_f32_e32 v7, v24, v16
	v_fmac_f32_e32 v23, -0.5, v4
	s_waitcnt lgkmcnt(9)
	v_mul_f32_e32 v4, v209, v191
	v_mul_f32_e32 v17, v208, v191
	v_fma_f32 v22, -0.5, v6, v22
	v_fma_f32 v16, v208, v190, -v4
	v_fmac_f32_e32 v17, v209, v190
	v_add_f32_e32 v4, v18, v16
	v_add_f32_e32 v6, v19, v17
	v_sub_f32_e32 v24, v18, v16
	s_waitcnt lgkmcnt(8)
	v_add_f32_e32 v18, v246, v18
	v_fma_f32 v20, -0.5, v4, v246
	v_fma_f32 v21, -0.5, v6, v247
	v_fmamk_f32 v4, v5, 0x3f5db3d7, v22
	v_fmac_f32_e32 v22, 0xbf5db3d7, v5
	v_fmamk_f32 v5, v7, 0xbf5db3d7, v23
	v_fmac_f32_e32 v23, 0x3f5db3d7, v7
	v_sub_f32_e32 v7, v19, v17
	v_add_f32_e32 v19, v247, v19
	v_fmamk_f32 v6, v7, 0x3f5db3d7, v20
	v_fmac_f32_e32 v20, 0xbf5db3d7, v7
	v_fmamk_f32 v7, v24, 0xbf5db3d7, v21
	v_fmac_f32_e32 v21, 0x3f5db3d7, v24
	ds_write2_b64 v47, v[4:5], v[6:7] offset0:6 offset1:249
	ds_write2_b64 v254, v[22:23], v[20:21] offset0:9 offset1:252
	v_add_co_ci_u32_e64 v21, null, s11, 0, s6
	v_add_co_u32 v20, vcc_lo, 0x4000, v13
	v_add_co_u32 v10, s6, s10, v10
	v_add_co_ci_u32_e32 v21, vcc_lo, 0, v21, vcc_lo
	v_add_f32_e32 v4, v18, v16
	v_add_f32_e32 v5, v19, v17
	v_mov_b32_e32 v17, v42
	global_load_dwordx4 v[200:203], v[20:21], off offset:1088
	v_add_co_u32 v20, vcc_lo, 0x4000, v10
	s_waitcnt vmcnt(0)
	v_mul_f32_e32 v13, v211, v203
	v_mul_f32_e32 v23, v210, v203
	s_waitcnt lgkmcnt(9)
	v_mul_f32_e32 v10, v213, v201
	v_mul_f32_e32 v24, v212, v201
	v_fma_f32 v22, v210, v202, -v13
	v_add_co_ci_u32_e64 v13, null, s11, 0, s6
	v_fmac_f32_e32 v23, v211, v202
	v_fmac_f32_e32 v24, v213, v200
	v_add_co_ci_u32_e32 v21, vcc_lo, 0, v13, vcc_lo
	v_fma_f32 v13, v212, v200, -v10
	v_add_f32_e32 v254, v249, v24
	global_load_dwordx4 v[208:211], v[20:21], off offset:1088
	v_add_f32_e32 v7, v254, v23
	s_waitcnt vmcnt(0)
	v_mul_f32_e32 v10, v215, v209
	v_mul_f32_e32 v21, v214, v209
	s_waitcnt lgkmcnt(7)
	v_mul_f32_e32 v25, v1, v211
	v_mul_f32_e32 v26, v0, v211
	v_fma_f32 v20, v214, v208, -v10
	v_lshlrev_b32_e32 v10, 4, v11
	v_fmac_f32_e32 v21, v215, v208
	v_fma_f32 v25, v0, v210, -v25
	v_fmac_f32_e32 v26, v1, v210
	v_add_co_u32 v10, s6, s10, v10
	v_add_co_ci_u32_e64 v11, null, s11, 0, s6
	v_add_co_u32 v10, vcc_lo, 0x4000, v10
	v_add_co_ci_u32_e32 v11, vcc_lo, 0, v11, vcc_lo
	global_load_dwordx4 v[212:215], v[10:11], off offset:1088
	v_sub_f32_e32 v10, v13, v22
	v_sub_f32_e32 v11, v21, v26
	s_waitcnt vmcnt(0)
	v_mul_f32_e32 v0, v3, v215
	v_mul_f32_e32 v64, v2, v215
	v_fma_f32 v27, v2, v214, -v0
	v_lshlrev_b32_e32 v0, 4, v12
	s_waitcnt lgkmcnt(6)
	v_mul_f32_e32 v2, v227, v213
	v_mul_f32_e32 v12, v226, v213
	v_fmac_f32_e32 v64, v3, v214
	v_sub_f32_e32 v3, v24, v23
	v_add_co_u32 v0, s6, s10, v0
	v_add_co_ci_u32_e64 v1, null, s11, 0, s6
	v_fma_f32 v65, v226, v212, -v2
	v_add_co_u32 v0, vcc_lo, 0x4000, v0
	v_add_co_ci_u32_e32 v1, vcc_lo, 0, v1, vcc_lo
	v_fmac_f32_e32 v12, v227, v212
	global_load_dwordx4 v[224:227], v[0:1], off offset:1088
	v_add_f32_e32 v246, v245, v12
	s_waitcnt vmcnt(0)
	v_mul_f32_e32 v0, v229, v225
	v_mul_f32_e32 v67, v228, v225
	s_waitcnt lgkmcnt(4)
	v_mul_f32_e32 v2, v231, v227
	v_mul_f32_e32 v74, v230, v227
	v_fma_f32 v66, v228, v224, -v0
	v_lshlrev_b32_e32 v0, 4, v14
	v_fmac_f32_e32 v67, v229, v224
	v_fma_f32 v73, v230, v226, -v2
	v_fmac_f32_e32 v74, v231, v226
	v_sub_f32_e32 v14, v65, v27
	v_add_co_u32 v0, s6, s10, v0
	v_add_co_ci_u32_e64 v1, null, s11, 0, s6
	v_add_co_u32 v0, vcc_lo, 0x4000, v0
	v_add_co_ci_u32_e32 v1, vcc_lo, 0, v1, vcc_lo
	global_load_dwordx4 v[228:231], v[0:1], off offset:1088
	s_waitcnt vmcnt(0)
	v_mul_f32_e32 v0, v233, v231
	v_mul_f32_e32 v89, v232, v231
	s_waitcnt lgkmcnt(3)
	v_mul_f32_e32 v2, v251, v229
	v_fma_f32 v88, v232, v230, -v0
	v_lshlrev_b32_e32 v0, 4, v15
	v_fmac_f32_e32 v89, v233, v230
	v_fma_f32 v91, v250, v228, -v2
	v_mul_f32_e32 v250, v250, v229
	v_sub_f32_e32 v15, v67, v74
	v_add_co_u32 v0, s6, s10, v0
	v_add_co_ci_u32_e64 v1, null, s11, 0, s6
	v_fmac_f32_e32 v250, v251, v228
	v_add_co_u32 v0, vcc_lo, 0x4000, v0
	v_add_co_ci_u32_e32 v1, vcc_lo, 0, v1, vcc_lo
	s_mul_hi_u32 s6, s0, 0xffff7ee8
	s_sub_i32 s6, s6, s0
	global_load_dwordx4 v[232:235], v[0:1], off offset:1088
	v_add_f32_e32 v1, v21, v26
	v_add_f32_e32 v21, v243, v21
	v_fma_f32 v1, -0.5, v1, v243
	v_add_f32_e32 v243, v240, v91
	s_waitcnt vmcnt(0)
	v_mul_f32_e32 v0, v253, v233
	v_fma_f32 v251, v252, v232, -v0
	v_mul_f32_e32 v252, v252, v233
	v_add_f32_e32 v0, v13, v22
	v_fmac_f32_e32 v252, v253, v232
	v_add_f32_e32 v253, v248, v13
	v_fma_f32 v248, -0.5, v0, v248
	v_add_f32_e32 v0, v24, v23
	v_sub_f32_e32 v13, v20, v25
	v_add_f32_e32 v24, v244, v65
	v_add_f32_e32 v6, v253, v22
	v_fmamk_f32 v2, v3, 0x3f5db3d7, v248
	v_fmac_f32_e32 v249, -0.5, v0
	v_add_f32_e32 v0, v20, v25
	v_fmac_f32_e32 v248, 0xbf5db3d7, v3
	v_add_f32_e32 v20, v242, v20
	v_fmamk_f32 v3, v10, 0xbf5db3d7, v249
	v_fma_f32 v0, -0.5, v0, v242
	v_fmac_f32_e32 v249, 0x3f5db3d7, v10
	v_mul_f32_e32 v242, v8, v235
	v_fmamk_f32 v10, v11, 0x3f5db3d7, v0
	v_fmac_f32_e32 v0, 0xbf5db3d7, v11
	v_fmamk_f32 v11, v13, 0xbf5db3d7, v1
	v_fmac_f32_e32 v1, 0x3f5db3d7, v13
	v_add_nc_u32_e32 v13, 0x9f40, v75
	v_fmac_f32_e32 v242, v9, v234
	ds_write2_b64 v13, v[248:249], v[0:1] offset0:7 offset1:250
	v_add_f32_e32 v0, v65, v27
	v_add_f32_e32 v1, v67, v74
	v_sub_f32_e32 v13, v12, v64
	v_sub_f32_e32 v65, v66, v73
	v_add_f32_e32 v67, v239, v67
	v_fma_f32 v244, -0.5, v0, v244
	v_add_f32_e32 v0, v12, v64
	v_fma_f32 v1, -0.5, v1, v239
	v_fmamk_f32 v12, v13, 0x3f5db3d7, v244
	v_fmac_f32_e32 v245, -0.5, v0
	v_add_f32_e32 v0, v66, v73
	v_fmac_f32_e32 v244, 0xbf5db3d7, v13
	v_add_f32_e32 v66, v238, v66
	v_fmamk_f32 v13, v14, 0xbf5db3d7, v245
	v_fma_f32 v0, -0.5, v0, v238
	v_fmac_f32_e32 v245, 0x3f5db3d7, v14
	v_fmamk_f32 v14, v15, 0x3f5db3d7, v0
	v_fmac_f32_e32 v0, 0xbf5db3d7, v15
	v_fmamk_f32 v15, v65, 0xbf5db3d7, v1
	v_fmac_f32_e32 v1, 0x3f5db3d7, v65
	ds_write2_b64 v32, v[244:245], v[0:1] offset0:5 offset1:248
	v_mul_f32_e32 v0, v9, v235
	v_add_f32_e32 v244, v241, v250
	v_sub_f32_e32 v1, v250, v89
	v_sub_f32_e32 v9, v252, v242
	v_add_f32_e32 v245, v237, v252
	v_fma_f32 v65, v8, v234, -v0
	v_add_f32_e32 v0, v91, v88
	v_sub_f32_e32 v8, v91, v88
	v_add_f32_e32 v91, v236, v251
	v_sub_f32_e32 v247, v251, v65
	v_fma_f32 v240, -0.5, v0, v240
	v_add_f32_e32 v0, v250, v89
	v_fmac_f32_e32 v241, -0.5, v0
	v_fmamk_f32 v0, v1, 0x3f5db3d7, v240
	v_fmac_f32_e32 v240, 0xbf5db3d7, v1
	v_fmamk_f32 v1, v8, 0xbf5db3d7, v241
	v_fmac_f32_e32 v241, 0x3f5db3d7, v8
	v_add_f32_e32 v8, v251, v65
	v_fma_f32 v236, -0.5, v8, v236
	v_fmamk_f32 v8, v9, 0x3f5db3d7, v236
	v_fmac_f32_e32 v236, 0xbf5db3d7, v9
	v_add_f32_e32 v9, v252, v242
	v_fmac_f32_e32 v237, -0.5, v9
	v_fmamk_f32 v9, v247, 0xbf5db3d7, v237
	v_fmac_f32_e32 v237, 0x3f5db3d7, v247
	ds_write2_b64 v28, v[240:241], v[236:237] offset0:11 offset1:254
	ds_write2_b64 v33, v[4:5], v[6:7] offset0:6 offset1:249
	;; [unrolled: 1-line block ×3, first 2 shown]
	v_add_f32_e32 v2, v20, v25
	v_add_f32_e32 v3, v21, v26
	;; [unrolled: 1-line block ×4, first 2 shown]
	ds_write2_b64 v42, v[2:3], v[4:5] offset0:12 offset1:255
	ds_write2_b64 v29, v[12:13], v[14:15] offset0:10 offset1:253
	v_add_f32_e32 v2, v66, v73
	v_add_f32_e32 v3, v67, v74
	;; [unrolled: 1-line block ×4, first 2 shown]
	ds_write2_b64 v43, v[2:3], v[4:5] offset0:2 offset1:245
	ds_write2_b64 v44, v[0:1], v[8:9] offset1:243
	v_add_f32_e32 v0, v91, v65
	v_add_f32_e32 v1, v245, v242
	v_mov_b32_e32 v88, v46
	v_mov_b32_e32 v20, v43
	;; [unrolled: 1-line block ×4, first 2 shown]
	ds_write_b64 v75, v[0:1] offset:15552
	v_add_co_u32 v0, vcc_lo, 0xc800, v72
	v_add_co_ci_u32_e32 v1, vcc_lo, 0, v90, vcc_lo
	s_waitcnt lgkmcnt(0)
	s_barrier
	buffer_gl0_inv
	global_load_dwordx2 v[4:5], v[0:1], off offset:1288
	ds_read2_b64 v[0:3], v75 offset1:243
	v_mov_b32_e32 v44, v45
	v_mov_b32_e32 v43, v30
	s_waitcnt vmcnt(0) lgkmcnt(0)
	v_mul_f32_e32 v6, v1, v5
	v_mul_f32_e32 v7, v0, v5
	v_fma_f32 v6, v0, v4, -v6
	v_add_co_u32 v0, vcc_lo, 0xcd08, v72
	v_fmac_f32_e32 v7, v1, v4
	v_add_co_ci_u32_e32 v1, vcc_lo, 0, v90, vcc_lo
	ds_write_b64 v75, v[6:7]
	global_load_dwordx2 v[0:1], v[0:1], off offset:1944
	s_waitcnt vmcnt(0)
	v_mul_f32_e32 v4, v3, v1
	v_mul_f32_e32 v241, v2, v1
	v_fma_f32 v240, v2, v0, -v4
	v_fmac_f32_e32 v241, v3, v0
	v_add_co_u32 v0, vcc_lo, 0x15000, v72
	v_add_co_ci_u32_e32 v1, vcc_lo, 0, v90, vcc_lo
	global_load_dwordx2 v[4:5], v[0:1], off offset:1464
	ds_read2_b64 v[0:3], v46 offset0:6 offset1:249
	v_mov_b32_e32 v46, v17
	s_waitcnt vmcnt(0) lgkmcnt(0)
	v_mul_f32_e32 v6, v1, v5
	v_mul_f32_e32 v239, v0, v5
	v_fma_f32 v238, v0, v4, -v6
	v_add_co_u32 v0, vcc_lo, 0x15800, v72
	v_fmac_f32_e32 v239, v1, v4
	v_add_co_ci_u32_e32 v1, vcc_lo, 0, v90, vcc_lo
	global_load_dwordx2 v[0:1], v[0:1], off offset:1360
	s_waitcnt vmcnt(0)
	v_mul_f32_e32 v4, v3, v1
	v_mul_f32_e32 v27, v2, v1
	v_fma_f32 v26, v2, v0, -v4
	v_fmac_f32_e32 v27, v3, v0
	v_add_co_u32 v0, vcc_lo, 0x11800, v72
	v_add_co_ci_u32_e32 v1, vcc_lo, 0, v90, vcc_lo
	global_load_dwordx2 v[4:5], v[0:1], off offset:248
	ds_read2_b64 v[0:3], v47 offset0:6 offset1:249
	v_mov_b32_e32 v47, v33
	s_waitcnt vmcnt(0) lgkmcnt(0)
	v_mul_f32_e32 v6, v1, v5
	v_mul_f32_e32 v247, v0, v5
	v_fma_f32 v246, v0, v4, -v6
	v_add_co_u32 v0, vcc_lo, 0x12000, v72
	v_fmac_f32_e32 v247, v1, v4
	v_add_co_ci_u32_e32 v1, vcc_lo, 0, v90, vcc_lo
	;; [unrolled: 18-line block ×3, first 2 shown]
	global_load_dwordx2 v[0:1], v[0:1], off offset:976
	s_waitcnt vmcnt(0)
	v_mul_f32_e32 v4, v3, v1
	v_mul_f32_e32 v253, v2, v1
	v_fma_f32 v252, v2, v0, -v4
	v_fmac_f32_e32 v253, v3, v0
	v_add_co_u32 v0, vcc_lo, 0x16000, v72
	v_add_co_ci_u32_e32 v1, vcc_lo, 0, v90, vcc_lo
	global_load_dwordx2 v[4:5], v[0:1], off offset:1256
	ds_read2_b64 v[0:3], v45 offset0:12 offset1:255
	v_add_nc_u32_e32 v45, 0x4bc0, v75
	s_waitcnt vmcnt(0) lgkmcnt(0)
	v_mul_f32_e32 v6, v1, v5
	v_mul_f32_e32 v25, v0, v5
	v_fma_f32 v24, v0, v4, -v6
	v_add_co_u32 v0, vcc_lo, 0x16800, v72
	v_fmac_f32_e32 v25, v1, v4
	v_add_co_ci_u32_e32 v1, vcc_lo, 0, v90, vcc_lo
	global_load_dwordx2 v[0:1], v[0:1], off offset:1152
	s_waitcnt vmcnt(0)
	v_mul_f32_e32 v4, v3, v1
	v_mul_f32_e32 v237, v2, v1
	v_fma_f32 v236, v2, v0, -v4
	v_add_co_u32 v4, vcc_lo, 0x12800, v72
	v_add_co_ci_u32_e32 v5, vcc_lo, 0, v90, vcc_lo
	v_fmac_f32_e32 v237, v3, v0
	ds_read2_b64 v[0:3], v255 offset0:4 offset1:247
	global_load_dwordx2 v[8:9], v[4:5], off offset:40
	s_waitcnt vmcnt(0) lgkmcnt(0)
	v_mul_f32_e32 v6, v1, v9
	v_mul_f32_e32 v7, v0, v9
	v_fma_f32 v6, v0, v8, -v6
	v_fmac_f32_e32 v7, v1, v8
	global_load_dwordx2 v[0:1], v[4:5], off offset:1984
	s_waitcnt vmcnt(0)
	v_mul_f32_e32 v4, v3, v1
	v_mul_f32_e32 v11, v2, v1
	v_fma_f32 v10, v2, v0, -v4
	v_fmac_f32_e32 v11, v3, v0
	v_add_co_u32 v0, vcc_lo, 0xe800, v72
	v_add_co_ci_u32_e32 v1, vcc_lo, 0, v90, vcc_lo
	global_load_dwordx2 v[8:9], v[0:1], off offset:872
	ds_read2_b64 v[0:3], v17 offset0:12 offset1:255
	s_waitcnt vmcnt(0) lgkmcnt(0)
	v_mul_f32_e32 v4, v1, v9
	v_mul_f32_e32 v5, v0, v9
	v_fma_f32 v4, v0, v8, -v4
	v_add_co_u32 v0, vcc_lo, 0xf000, v72
	v_fmac_f32_e32 v5, v1, v8
	v_add_co_ci_u32_e32 v1, vcc_lo, 0, v90, vcc_lo
	global_load_dwordx2 v[0:1], v[0:1], off offset:768
	s_waitcnt vmcnt(0)
	v_mul_f32_e32 v8, v3, v1
	v_mul_f32_e32 v15, v2, v1
	v_fma_f32 v14, v2, v0, -v8
	v_fmac_f32_e32 v15, v3, v0
	v_add_co_u32 v0, vcc_lo, 0x17000, v72
	v_add_co_ci_u32_e32 v1, vcc_lo, 0, v90, vcc_lo
	global_load_dwordx2 v[8:9], v[0:1], off offset:1048
	ds_read2_b64 v[0:3], v30 offset0:2 offset1:245
	v_mov_b32_e32 v30, v31
	s_waitcnt vmcnt(0) lgkmcnt(0)
	v_mul_f32_e32 v12, v1, v9
	v_mul_f32_e32 v243, v0, v9
	v_fma_f32 v242, v0, v8, -v12
	v_add_co_u32 v0, vcc_lo, 0x17800, v72
	v_fmac_f32_e32 v243, v1, v8
	v_add_co_ci_u32_e32 v1, vcc_lo, 0, v90, vcc_lo
	global_load_dwordx2 v[0:1], v[0:1], off offset:944
	s_waitcnt vmcnt(0)
	v_mul_f32_e32 v8, v3, v1
	v_mul_f32_e32 v245, v2, v1
	v_fma_f32 v244, v2, v0, -v8
	v_fmac_f32_e32 v245, v3, v0
	v_add_co_u32 v0, vcc_lo, 0x13000, v72
	v_add_co_ci_u32_e32 v1, vcc_lo, 0, v90, vcc_lo
	global_load_dwordx2 v[8:9], v[0:1], off offset:1880
	ds_read2_b64 v[0:3], v29 offset0:10 offset1:253
	v_add_nc_u32_e32 v29, 0x3c80, v75
	s_waitcnt vmcnt(0) lgkmcnt(0)
	v_mul_f32_e32 v12, v1, v9
	v_mul_f32_e32 v13, v0, v9
	v_fma_f32 v12, v0, v8, -v12
	v_add_co_u32 v0, vcc_lo, 0x13800, v72
	v_fmac_f32_e32 v13, v1, v8
	v_add_co_ci_u32_e32 v1, vcc_lo, 0, v90, vcc_lo
	global_load_dwordx2 v[0:1], v[0:1], off offset:1776
	s_waitcnt vmcnt(0)
	v_mul_f32_e32 v8, v3, v1
	v_mul_f32_e32 v19, v2, v1
	v_fma_f32 v18, v2, v0, -v8
	v_fmac_f32_e32 v19, v3, v0
	v_add_co_u32 v0, vcc_lo, 0xf800, v72
	v_add_co_ci_u32_e32 v1, vcc_lo, 0, v90, vcc_lo
	global_load_dwordx2 v[16:17], v[0:1], off offset:664
	ds_read2_b64 v[0:3], v20 offset0:2 offset1:245
	s_waitcnt vmcnt(0) lgkmcnt(0)
	v_mul_f32_e32 v8, v1, v17
	v_mul_f32_e32 v9, v0, v17
	v_fma_f32 v8, v0, v16, -v8
	v_add_co_u32 v0, vcc_lo, 0x10000, v72
	v_fmac_f32_e32 v9, v1, v16
	v_add_co_ci_u32_e32 v1, vcc_lo, 0, v90, vcc_lo
	global_load_dwordx2 v[0:1], v[0:1], off offset:560
	s_waitcnt vmcnt(0)
	v_mul_f32_e32 v16, v3, v1
	v_mul_f32_e32 v23, v2, v1
	v_fma_f32 v22, v2, v0, -v16
	v_fmac_f32_e32 v23, v3, v0
	v_add_co_u32 v0, vcc_lo, 0x18000, v72
	v_add_co_ci_u32_e32 v1, vcc_lo, 0, v90, vcc_lo
	global_load_dwordx2 v[64:65], v[0:1], off offset:840
	ds_read2_b64 v[0:3], v31 offset0:8 offset1:251
	v_mov_b32_e32 v31, v89
	s_waitcnt vmcnt(0) lgkmcnt(0)
	v_mul_f32_e32 v16, v1, v65
	v_mul_f32_e32 v21, v0, v65
	v_fma_f32 v20, v0, v64, -v16
	v_add_co_u32 v0, vcc_lo, 0x18800, v72
	v_fmac_f32_e32 v21, v1, v64
	v_add_co_ci_u32_e32 v1, vcc_lo, 0, v90, vcc_lo
	global_load_dwordx2 v[64:65], v[0:1], off offset:736
	s_waitcnt vmcnt(0)
	v_mul_f32_e32 v0, v3, v65
	v_mul_f32_e32 v17, v2, v65
	v_fma_f32 v16, v2, v64, -v0
	v_add_co_u32 v2, vcc_lo, 0x11000, v72
	v_fmac_f32_e32 v17, v3, v64
	v_add_co_ci_u32_e32 v3, vcc_lo, 0, v90, vcc_lo
	ds_read2_b64 v[64:67], v29 offset0:8 offset1:251
	global_load_dwordx2 v[2:3], v[2:3], off offset:352
	s_waitcnt vmcnt(0) lgkmcnt(0)
	v_mul_f32_e32 v0, v67, v3
	v_mul_f32_e32 v74, v66, v3
	v_fma_f32 v73, v66, v2, -v0
	v_fmac_f32_e32 v74, v67, v2
	v_add_co_u32 v2, vcc_lo, 0x10800, v72
	v_add_co_ci_u32_e32 v3, vcc_lo, 0, v90, vcc_lo
	global_load_dwordx2 v[2:3], v[2:3], off offset:456
	s_waitcnt vmcnt(0)
	v_mul_f32_e32 v0, v65, v3
	v_mul_f32_e32 v255, v64, v3
	v_fma_f32 v254, v64, v2, -v0
	v_fmac_f32_e32 v255, v65, v2
	v_add_co_u32 v2, vcc_lo, 0x14000, v72
	v_add_co_ci_u32_e32 v3, vcc_lo, 0, v90, vcc_lo
	ds_read2_b64 v[64:67], v89 offset1:243
	global_load_dwordx2 v[2:3], v[2:3], off offset:1672
	s_waitcnt vmcnt(0) lgkmcnt(0)
	v_mul_f32_e32 v0, v65, v3
	v_mul_f32_e32 v1, v64, v3
	v_fma_f32 v0, v64, v2, -v0
	v_fmac_f32_e32 v1, v65, v2
	v_add_co_u32 v2, vcc_lo, 0x14800, v72
	v_add_co_ci_u32_e32 v3, vcc_lo, 0, v90, vcc_lo
	global_load_dwordx2 v[2:3], v[2:3], off offset:1568
	s_waitcnt vmcnt(0)
	v_mul_f32_e32 v64, v67, v3
	v_mul_f32_e32 v65, v66, v3
	v_fma_f32 v64, v66, v2, -v64
	v_fmac_f32_e32 v65, v67, v2
	v_add_nc_u32_e32 v2, 0x4400, v75
	ds_write2_b64 v2, v[73:74], v[246:247] offset0:11 offset1:254
	v_add_nc_u32_e32 v2, 0x780, v75
	ds_write2_b64 v2, v[240:241], v[250:251] offset0:3 offset1:246
	;; [unrolled: 2-line block ×4, first 2 shown]
	v_add_nc_u32_e32 v2, 0x6280, v75
	v_mov_b32_e32 v253, v30
	ds_write2_b64 v2, v[10:11], v[12:13] offset0:7 offset1:250
	v_add_nc_u32_e32 v2, 0x25c0, v75
	ds_write2_b64 v2, v[14:15], v[8:9] offset0:7 offset1:250
	v_add_nc_u32_e32 v2, 0x71c0, v75
	;; [unrolled: 2-line block ×3, first 2 shown]
	ds_read_b64 v[2:3], v75 offset:50544
	ds_write2_b64 v0, v[22:23], v[254:255] offset0:5 offset1:248
	v_add_nc_u32_e32 v0, 0x8100, v75
	v_mov_b32_e32 v255, v29
	v_mov_b32_e32 v254, v45
	ds_write2_b64 v0, v[64:65], v[238:239] offset0:3 offset1:246
	v_add_co_u32 v0, vcc_lo, 0x19000, v72
	v_add_co_ci_u32_e32 v1, vcc_lo, 0, v90, vcc_lo
	global_load_dwordx2 v[0:1], v[0:1], off offset:632
	s_waitcnt vmcnt(0) lgkmcnt(2)
	v_mul_f32_e32 v4, v3, v1
	v_mul_f32_e32 v5, v2, v1
	v_fma_f32 v4, v2, v0, -v4
	v_fmac_f32_e32 v5, v3, v0
	v_add_nc_u32_e32 v0, 0x9000, v75
	ds_write2_b64 v0, v[26:27], v[24:25] offset0:9 offset1:252
	v_add_nc_u32_e32 v0, 0x9f40, v75
	ds_write2_b64 v0, v[236:237], v[242:243] offset0:7 offset1:250
	ds_write2_b64 v32, v[244:245], v[20:21] offset0:5 offset1:248
	;; [unrolled: 1-line block ×3, first 2 shown]
	s_waitcnt lgkmcnt(0)
	s_barrier
	buffer_gl0_inv
	ds_read2_b64 v[0:3], v75 offset1:243
	ds_read2_b64 v[4:7], v29 offset0:8 offset1:251
	ds_read2_b64 v[8:11], v88 offset0:6 offset1:249
	v_add_nc_u32_e32 v28, 0x6a00, v75
	ds_read_b64 v[90:91], v75 offset:50544
	v_mov_b32_e32 v32, v88
	v_mov_b32_e32 v29, v44
	s_waitcnt lgkmcnt(2)
	v_add_f32_e32 v12, v0, v6
	v_add_f32_e32 v13, v1, v7
	s_waitcnt lgkmcnt(1)
	v_sub_f32_e32 v74, v7, v9
	v_sub_f32_e32 v252, v6, v8
	v_add_f32_e32 v72, v12, v8
	v_add_f32_e32 v73, v13, v9
	;; [unrolled: 1-line block ×4, first 2 shown]
	v_fma_f32 v0, -0.5, v12, v0
	v_fma_f32 v1, -0.5, v13, v1
	ds_read2_b64 v[6:9], v45 offset0:6 offset1:249
	ds_read2_b64 v[12:15], v47 offset0:6 offset1:249
	;; [unrolled: 1-line block ×9, first 2 shown]
	ds_read2_b64 v[248:251], v31 offset1:243
	s_waitcnt lgkmcnt(0)
	s_barrier
	buffer_gl0_inv
	buffer_load_dword v30, off, s[20:23], 0 offset:232 ; 4-byte Folded Reload
	v_fmamk_f32 v88, v74, 0xbf5db3d7, v0
	v_fmamk_f32 v89, v252, 0x3f5db3d7, v1
	v_fmac_f32_e32 v0, 0x3f5db3d7, v74
	v_fmac_f32_e32 v1, 0xbf5db3d7, v252
	v_mov_b32_e32 v44, v31
	s_waitcnt vmcnt(0)
	ds_write2_b64 v30, v[72:73], v[88:89] offset1:1
	v_add_f32_e32 v73, v3, v7
	v_sub_f32_e32 v89, v7, v11
	v_add_f32_e32 v7, v7, v11
	v_add_f32_e32 v88, v6, v10
	;; [unrolled: 1-line block ×3, first 2 shown]
	v_sub_f32_e32 v6, v6, v10
	v_add_f32_e32 v73, v73, v11
	v_fmac_f32_e32 v3, -0.5, v7
	buffer_load_dword v7, off, s[20:23], 0 offset:228 ; 4-byte Folded Reload
	v_fma_f32 v2, -0.5, v88, v2
	v_add_f32_e32 v72, v72, v10
	ds_write_b64 v30, v[0:1] offset:16
	v_fmamk_f32 v1, v6, 0x3f5db3d7, v3
	v_fmac_f32_e32 v3, 0xbf5db3d7, v6
	v_fmamk_f32 v0, v89, 0xbf5db3d7, v2
	v_fmac_f32_e32 v2, 0x3f5db3d7, v89
	v_sub_f32_e32 v10, v9, v17
	v_sub_f32_e32 v11, v20, v18
	v_mov_b32_e32 v30, v253
	s_waitcnt vmcnt(0)
	ds_write2_b64 v7, v[72:73], v[0:1] offset1:1
	v_add_f32_e32 v0, v8, v16
	ds_write_b64 v7, v[2:3] offset:16
	v_add_f32_e32 v2, v12, v8
	v_add_f32_e32 v1, v9, v17
	;; [unrolled: 1-line block ×3, first 2 shown]
	v_fma_f32 v0, -0.5, v0, v12
	buffer_load_dword v12, off, s[20:23], 0 offset:236 ; 4-byte Folded Reload
	v_sub_f32_e32 v8, v8, v16
	v_fma_f32 v1, -0.5, v1, v13
	v_add_f32_e32 v2, v2, v16
	v_add_f32_e32 v3, v3, v17
	v_fmamk_f32 v6, v10, 0xbf5db3d7, v0
	v_fmac_f32_e32 v0, 0x3f5db3d7, v10
	v_fmamk_f32 v7, v8, 0x3f5db3d7, v1
	v_fmac_f32_e32 v1, 0xbf5db3d7, v8
	v_add_f32_e32 v9, v21, v19
	v_sub_f32_e32 v8, v23, v65
	v_add_f32_e32 v10, v237, v67
	s_waitcnt vmcnt(0)
	ds_write2_b64 v12, v[2:3], v[6:7] offset1:1
	v_add_f32_e32 v6, v20, v18
	v_add_f32_e32 v2, v14, v20
	ds_write_b64 v12, v[0:1] offset:16
	buffer_load_dword v12, off, s[20:23], 0 offset:248 ; 4-byte Folded Reload
	v_add_f32_e32 v3, v15, v21
	v_fma_f32 v14, -0.5, v6, v14
	buffer_load_dword v6, off, s[20:23], 0 offset:240 ; 4-byte Folded Reload
	v_sub_f32_e32 v7, v21, v19
	v_fmac_f32_e32 v15, -0.5, v9
	v_add_f32_e32 v2, v2, v18
	v_add_f32_e32 v3, v3, v19
	v_sub_f32_e32 v9, v22, v64
	v_fmamk_f32 v0, v7, 0xbf5db3d7, v14
	v_fmamk_f32 v1, v11, 0x3f5db3d7, v15
	v_fmac_f32_e32 v14, 0x3f5db3d7, v7
	v_fmac_f32_e32 v15, 0xbf5db3d7, v11
	v_sub_f32_e32 v11, v236, v66
	s_waitcnt vmcnt(0)
	ds_write2_b64 v6, v[2:3], v[0:1] offset1:1
	v_add_f32_e32 v0, v22, v64
	v_add_f32_e32 v1, v23, v65
	;; [unrolled: 1-line block ×4, first 2 shown]
	ds_write_b64 v6, v[14:15] offset:16
	v_fma_f32 v0, -0.5, v0, v24
	v_fma_f32 v1, -0.5, v1, v25
	v_add_f32_e32 v2, v2, v64
	v_add_f32_e32 v3, v3, v65
	v_fmamk_f32 v6, v8, 0xbf5db3d7, v0
	v_fmamk_f32 v7, v9, 0x3f5db3d7, v1
	v_fmac_f32_e32 v0, 0x3f5db3d7, v8
	v_fmac_f32_e32 v1, 0xbf5db3d7, v9
	v_sub_f32_e32 v8, v239, v245
	v_sub_f32_e32 v9, v238, v244
	ds_write2_b64 v12, v[2:3], v[6:7] offset1:1
	v_add_f32_e32 v6, v236, v66
	v_add_f32_e32 v2, v26, v236
	ds_write_b64 v12, v[0:1] offset:16
	buffer_load_dword v12, off, s[20:23], 0 offset:252 ; 4-byte Folded Reload
	v_add_f32_e32 v3, v27, v237
	v_fma_f32 v26, -0.5, v6, v26
	buffer_load_dword v6, off, s[20:23], 0 offset:244 ; 4-byte Folded Reload
	v_sub_f32_e32 v7, v237, v67
	v_fmac_f32_e32 v27, -0.5, v10
	v_add_f32_e32 v2, v2, v66
	v_add_f32_e32 v3, v3, v67
	;; [unrolled: 1-line block ×3, first 2 shown]
	v_fmamk_f32 v0, v7, 0xbf5db3d7, v26
	v_fmamk_f32 v1, v11, 0x3f5db3d7, v27
	v_fmac_f32_e32 v26, 0x3f5db3d7, v7
	v_fmac_f32_e32 v27, 0xbf5db3d7, v11
	v_sub_f32_e32 v11, v248, v246
	s_waitcnt vmcnt(0)
	ds_write2_b64 v6, v[2:3], v[0:1] offset1:1
	v_add_f32_e32 v0, v238, v244
	v_add_f32_e32 v1, v239, v245
	;; [unrolled: 1-line block ×4, first 2 shown]
	ds_write_b64 v6, v[26:27] offset:16
	v_fma_f32 v0, -0.5, v0, v240
	v_fma_f32 v1, -0.5, v1, v241
	v_add_f32_e32 v2, v2, v244
	v_add_f32_e32 v3, v3, v245
	v_fmamk_f32 v6, v8, 0xbf5db3d7, v0
	v_fmamk_f32 v7, v9, 0x3f5db3d7, v1
	v_fmac_f32_e32 v0, 0x3f5db3d7, v8
	buffer_load_dword v8, off, s[20:23], 0 offset:260 ; 4-byte Folded Reload
	v_fmac_f32_e32 v1, 0xbf5db3d7, v9
	ds_write2_b64 v12, v[2:3], v[6:7] offset1:1
	v_add_f32_e32 v6, v248, v246
	v_add_f32_e32 v2, v242, v248
	;; [unrolled: 1-line block ×3, first 2 shown]
	v_sub_f32_e32 v7, v249, v247
	v_fmac_f32_e32 v243, -0.5, v10
	v_fma_f32 v242, -0.5, v6, v242
	buffer_load_dword v6, off, s[20:23], 0 offset:256 ; 4-byte Folded Reload
	v_add_f32_e32 v2, v2, v246
	v_add_f32_e32 v3, v3, v247
	ds_write_b64 v12, v[0:1] offset:16
	v_fmamk_f32 v0, v7, 0xbf5db3d7, v242
	v_fmamk_f32 v1, v11, 0x3f5db3d7, v243
	v_fmac_f32_e32 v242, 0x3f5db3d7, v7
	v_fmac_f32_e32 v243, 0xbf5db3d7, v11
	v_sub_f32_e32 v7, v250, v90
	s_waitcnt vmcnt(0)
	ds_write2_b64 v6, v[2:3], v[0:1] offset1:1
	v_add_f32_e32 v2, v250, v90
	v_add_f32_e32 v3, v251, v91
	ds_write_b64 v6, v[242:243] offset:16
	v_add_f32_e32 v0, v4, v250
	v_add_f32_e32 v1, v5, v251
	v_sub_f32_e32 v6, v251, v91
	v_fma_f32 v4, -0.5, v2, v4
	v_fmac_f32_e32 v5, -0.5, v3
	v_add_f32_e32 v0, v0, v90
	v_add_f32_e32 v1, v1, v91
	v_fmamk_f32 v2, v6, 0xbf5db3d7, v4
	v_fmamk_f32 v3, v7, 0x3f5db3d7, v5
	v_fmac_f32_e32 v4, 0x3f5db3d7, v6
	v_fmac_f32_e32 v5, 0xbf5db3d7, v7
	ds_write2_b64 v8, v[0:1], v[2:3] offset1:1
	ds_write_b64 v8, v[4:5] offset:16
	s_waitcnt lgkmcnt(0)
	s_barrier
	buffer_gl0_inv
	ds_read_b64 v[0:1], v75 offset:50544
	s_clause 0x3
	buffer_load_dword v4, off, s[20:23], 0 offset:444
	buffer_load_dword v5, off, s[20:23], 0 offset:448
	buffer_load_dword v6, off, s[20:23], 0 offset:452
	buffer_load_dword v7, off, s[20:23], 0 offset:456
	s_waitcnt vmcnt(0) lgkmcnt(0)
	v_mul_f32_e32 v22, v7, v1
	v_fmac_f32_e32 v22, v6, v0
	v_mul_f32_e32 v0, v7, v0
	v_fma_f32 v23, v6, v1, -v0
	ds_read2_b64 v[0:3], v31 offset1:243
	v_mov_b32_e32 v31, v43
	s_waitcnt lgkmcnt(0)
	v_mul_f32_e32 v24, v5, v3
	v_fmac_f32_e32 v24, v4, v2
	v_mul_f32_e32 v2, v5, v2
	v_fma_f32 v25, v4, v3, -v2
	s_clause 0x3
	buffer_load_dword v2, off, s[20:23], 0 offset:400
	buffer_load_dword v3, off, s[20:23], 0 offset:404
	;; [unrolled: 1-line block ×4, first 2 shown]
	s_waitcnt vmcnt(2)
	v_mul_f32_e32 v26, v3, v1
	v_fmac_f32_e32 v26, v2, v0
	v_mul_f32_e32 v0, v3, v0
	v_fma_f32 v27, v2, v1, -v0
	ds_read2_b64 v[0:3], v253 offset0:8 offset1:251
	v_mov_b32_e32 v253, v47
	s_waitcnt vmcnt(0) lgkmcnt(0)
	v_mul_f32_e32 v64, v5, v3
	v_fmac_f32_e32 v64, v4, v2
	v_mul_f32_e32 v2, v5, v2
	v_fma_f32 v65, v4, v3, -v2
	s_clause 0x3
	buffer_load_dword v4, off, s[20:23], 0 offset:368
	buffer_load_dword v5, off, s[20:23], 0 offset:372
	;; [unrolled: 1-line block ×4, first 2 shown]
	s_waitcnt vmcnt(0)
	v_mul_f32_e32 v66, v7, v1
	v_fmac_f32_e32 v66, v6, v0
	v_mul_f32_e32 v0, v7, v0
	v_fma_f32 v67, v6, v1, -v0
	ds_read2_b64 v[0:3], v28 offset0:10 offset1:253
	s_waitcnt lgkmcnt(0)
	v_mul_f32_e32 v72, v5, v3
	v_fmac_f32_e32 v72, v4, v2
	v_mul_f32_e32 v2, v5, v2
	v_fma_f32 v73, v4, v3, -v2
	s_clause 0x3
	buffer_load_dword v2, off, s[20:23], 0 offset:328
	buffer_load_dword v3, off, s[20:23], 0 offset:332
	;; [unrolled: 1-line block ×4, first 2 shown]
	s_waitcnt vmcnt(2)
	v_mul_f32_e32 v74, v3, v1
	v_fmac_f32_e32 v74, v2, v0
	v_mul_f32_e32 v0, v3, v0
	v_fma_f32 v88, v2, v1, -v0
	ds_read2_b64 v[0:3], v43 offset0:2 offset1:245
	v_mov_b32_e32 v43, v32
	s_waitcnt vmcnt(0) lgkmcnt(0)
	v_mul_f32_e32 v89, v5, v3
	v_fmac_f32_e32 v89, v4, v2
	v_mul_f32_e32 v2, v5, v2
	v_fma_f32 v90, v4, v3, -v2
	s_clause 0x3
	buffer_load_dword v4, off, s[20:23], 0 offset:312
	buffer_load_dword v5, off, s[20:23], 0 offset:316
	;; [unrolled: 1-line block ×4, first 2 shown]
	s_waitcnt vmcnt(0)
	v_mul_f32_e32 v91, v7, v1
	v_fmac_f32_e32 v91, v6, v0
	v_mul_f32_e32 v0, v7, v0
	v_fma_f32 v236, v6, v1, -v0
	ds_read2_b64 v[0:3], v42 offset0:4 offset1:247
	s_waitcnt lgkmcnt(0)
	v_mul_f32_e32 v237, v5, v3
	v_fmac_f32_e32 v237, v4, v2
	v_mul_f32_e32 v2, v5, v2
	v_fma_f32 v238, v4, v3, -v2
	s_clause 0x3
	buffer_load_dword v2, off, s[20:23], 0 offset:296
	buffer_load_dword v3, off, s[20:23], 0 offset:300
	;; [unrolled: 1-line block ×4, first 2 shown]
	s_waitcnt vmcnt(2)
	v_mul_f32_e32 v239, v3, v1
	v_fmac_f32_e32 v239, v2, v0
	v_mul_f32_e32 v0, v3, v0
	v_fma_f32 v240, v2, v1, -v0
	ds_read2_b64 v[0:3], v29 offset0:12 offset1:255
	s_waitcnt vmcnt(0) lgkmcnt(0)
	v_mul_f32_e32 v241, v5, v3
	v_fmac_f32_e32 v241, v4, v2
	v_mul_f32_e32 v2, v5, v2
	v_fma_f32 v242, v4, v3, -v2
	s_clause 0x3
	buffer_load_dword v4, off, s[20:23], 0 offset:280
	buffer_load_dword v5, off, s[20:23], 0 offset:284
	;; [unrolled: 1-line block ×4, first 2 shown]
	s_waitcnt vmcnt(0)
	v_mul_f32_e32 v243, v7, v1
	v_fmac_f32_e32 v243, v6, v0
	v_mul_f32_e32 v0, v7, v0
	v_fma_f32 v244, v6, v1, -v0
	ds_read2_b64 v[0:3], v45 offset0:6 offset1:249
	s_waitcnt lgkmcnt(0)
	v_mul_f32_e32 v245, v5, v3
	v_fmac_f32_e32 v245, v4, v2
	v_mul_f32_e32 v2, v5, v2
	v_fma_f32 v246, v4, v3, -v2
	s_clause 0x3
	buffer_load_dword v2, off, s[20:23], 0 offset:264
	buffer_load_dword v3, off, s[20:23], 0 offset:268
	;; [unrolled: 1-line block ×4, first 2 shown]
	s_waitcnt vmcnt(2)
	v_mul_f32_e32 v247, v3, v1
	v_fmac_f32_e32 v247, v2, v0
	v_mul_f32_e32 v0, v3, v0
	v_fma_f32 v248, v2, v1, -v0
	ds_read2_b64 v[0:3], v32 offset0:6 offset1:249
	s_clause 0x3
	buffer_load_dword v9, off, s[20:23], 0 offset:348
	buffer_load_dword v10, off, s[20:23], 0 offset:352
	;; [unrolled: 1-line block ×4, first 2 shown]
	s_waitcnt vmcnt(4) lgkmcnt(0)
	v_mul_f32_e32 v249, v5, v3
	v_fmac_f32_e32 v249, v4, v2
	v_mul_f32_e32 v2, v5, v2
	v_fma_f32 v250, v4, v3, -v2
	s_waitcnt vmcnt(0)
	v_mul_f32_e32 v6, v12, v1
	v_fmac_f32_e32 v6, v11, v0
	v_mul_f32_e32 v0, v12, v0
	v_fma_f32 v7, v11, v1, -v0
	ds_read2_b64 v[0:3], v255 offset0:8 offset1:251
	s_waitcnt lgkmcnt(0)
	v_mul_f32_e32 v8, v10, v3
	v_fmac_f32_e32 v8, v9, v2
	v_mul_f32_e32 v2, v10, v2
	v_sub_f32_e32 v252, v8, v6
	v_fma_f32 v9, v9, v3, -v2
	ds_read2_b64 v[2:5], v75 offset1:243
	v_sub_f32_e32 v251, v9, v7
	s_waitcnt lgkmcnt(0)
	v_add_f32_e32 v11, v3, v9
	v_add_f32_e32 v10, v2, v8
	;; [unrolled: 1-line block ×6, first 2 shown]
	v_fma_f32 v3, -0.5, v7, v3
	v_fma_f32 v2, -0.5, v9, v2
	ds_read2_b64 v[6:9], v47 offset0:6 offset1:249
	ds_read2_b64 v[10:13], v46 offset0:12 offset1:255
	;; [unrolled: 1-line block ×3, first 2 shown]
	s_waitcnt lgkmcnt(0)
	s_barrier
	buffer_gl0_inv
	buffer_load_dword v28, off, s[20:23], 0 offset:344 ; 4-byte Folded Reload
	v_fmamk_f32 v20, v251, 0xbf5db3d7, v2
	v_fmamk_f32 v21, v252, 0x3f5db3d7, v3
	v_fmac_f32_e32 v2, 0x3f5db3d7, v251
	v_fmac_f32_e32 v3, 0xbf5db3d7, v252
	s_waitcnt vmcnt(0)
	ds_write2_b64 v28, v[18:19], v[20:21] offset1:3
	ds_write_b64 v28, v[2:3] offset:48
	buffer_load_dword v28, off, s[20:23], 0 offset:364 ; 4-byte Folded Reload
	v_add_f32_e32 v2, v247, v249
	v_add_f32_e32 v3, v4, v247
	;; [unrolled: 1-line block ×3, first 2 shown]
	v_sub_f32_e32 v20, v248, v250
	v_sub_f32_e32 v21, v247, v249
	v_fma_f32 v4, -0.5, v2, v4
	v_add_f32_e32 v2, v3, v249
	v_add_f32_e32 v3, v18, v250
	;; [unrolled: 1-line block ×3, first 2 shown]
	v_fmac_f32_e32 v5, -0.5, v18
	v_fmamk_f32 v18, v20, 0xbf5db3d7, v4
	v_fmac_f32_e32 v4, 0x3f5db3d7, v20
	buffer_load_dword v20, off, s[20:23], 0 offset:384 ; 4-byte Folded Reload
	v_fmamk_f32 v19, v21, 0x3f5db3d7, v5
	v_fmac_f32_e32 v5, 0xbf5db3d7, v21
	s_waitcnt vmcnt(1)
	ds_write_b64 v28, v[4:5] offset:48
	v_add_f32_e32 v4, v245, v243
	ds_write2_b64 v28, v[2:3], v[18:19] offset1:3
	v_sub_f32_e32 v18, v246, v244
	v_add_f32_e32 v2, v6, v245
	v_add_f32_e32 v5, v246, v244
	v_fma_f32 v4, -0.5, v4, v6
	v_add_f32_e32 v3, v7, v246
	v_sub_f32_e32 v19, v245, v243
	v_add_f32_e32 v2, v2, v243
	v_fma_f32 v5, -0.5, v5, v7
	v_fmamk_f32 v6, v18, 0xbf5db3d7, v4
	v_fmac_f32_e32 v4, 0x3f5db3d7, v18
	buffer_load_dword v18, off, s[20:23], 0 offset:396 ; 4-byte Folded Reload
	v_add_f32_e32 v3, v3, v244
	v_fmamk_f32 v7, v19, 0x3f5db3d7, v5
	v_fmac_f32_e32 v5, 0xbf5db3d7, v19
	s_waitcnt vmcnt(1)
	ds_write2_b64 v20, v[2:3], v[6:7] offset1:3
	ds_write_b64 v20, v[4:5] offset:48
	v_add_f32_e32 v2, v239, v241
	v_add_f32_e32 v3, v8, v239
	;; [unrolled: 1-line block ×3, first 2 shown]
	v_sub_f32_e32 v6, v240, v242
	v_sub_f32_e32 v7, v239, v241
	v_fma_f32 v8, -0.5, v2, v8
	v_add_f32_e32 v2, v3, v241
	v_add_f32_e32 v3, v4, v242
	;; [unrolled: 1-line block ×3, first 2 shown]
	v_fmac_f32_e32 v9, -0.5, v4
	v_fmamk_f32 v4, v6, 0xbf5db3d7, v8
	v_fmac_f32_e32 v8, 0x3f5db3d7, v6
	v_fmamk_f32 v5, v7, 0x3f5db3d7, v9
	v_fmac_f32_e32 v9, 0xbf5db3d7, v7
	s_waitcnt vmcnt(0)
	ds_write2_b64 v18, v[2:3], v[4:5] offset1:3
	v_add_f32_e32 v4, v237, v91
	v_add_f32_e32 v2, v10, v237
	ds_write_b64 v18, v[8:9] offset:48
	v_sub_f32_e32 v8, v238, v236
	v_add_f32_e32 v5, v238, v236
	v_fma_f32 v4, -0.5, v4, v10
	buffer_load_dword v10, off, s[20:23], 0 offset:392 ; 4-byte Folded Reload
	v_add_f32_e32 v3, v11, v238
	v_sub_f32_e32 v9, v237, v91
	v_fma_f32 v5, -0.5, v5, v11
	v_fmamk_f32 v6, v8, 0xbf5db3d7, v4
	v_fmac_f32_e32 v4, 0x3f5db3d7, v8
	buffer_load_dword v8, off, s[20:23], 0 offset:388 ; 4-byte Folded Reload
	v_add_f32_e32 v2, v2, v91
	v_add_f32_e32 v3, v3, v236
	v_fmamk_f32 v7, v9, 0x3f5db3d7, v5
	v_fmac_f32_e32 v5, 0xbf5db3d7, v9
	v_sub_f32_e32 v9, v72, v66
	s_waitcnt vmcnt(1)
	ds_write2_b64 v10, v[2:3], v[6:7] offset1:3
	ds_write_b64 v10, v[4:5] offset:48
	v_add_f32_e32 v2, v74, v89
	v_add_f32_e32 v3, v12, v74
	;; [unrolled: 1-line block ×3, first 2 shown]
	v_sub_f32_e32 v6, v88, v90
	v_sub_f32_e32 v7, v74, v89
	v_fma_f32 v12, -0.5, v2, v12
	v_add_f32_e32 v2, v3, v89
	v_add_f32_e32 v3, v4, v90
	;; [unrolled: 1-line block ×3, first 2 shown]
	buffer_load_dword v10, off, s[20:23], 0 offset:420 ; 4-byte Folded Reload
	v_add_nc_u32_e32 v89, 0x6a00, v75
	v_mov_b32_e32 v90, v43
	v_add_nc_u32_e32 v74, 0x1e00, v75
	v_fmac_f32_e32 v13, -0.5, v4
	v_fmamk_f32 v4, v6, 0xbf5db3d7, v12
	v_fmac_f32_e32 v12, 0x3f5db3d7, v6
	v_fmamk_f32 v5, v7, 0x3f5db3d7, v13
	v_fmac_f32_e32 v13, 0xbf5db3d7, v7
	s_waitcnt vmcnt(1)
	ds_write2_b64 v8, v[2:3], v[4:5] offset1:3
	v_add_f32_e32 v4, v72, v66
	ds_write_b64 v8, v[12:13] offset:48
	v_sub_f32_e32 v8, v73, v67
	v_add_f32_e32 v5, v73, v67
	v_add_f32_e32 v2, v14, v72
	v_fma_f32 v4, -0.5, v4, v14
	v_add_f32_e32 v3, v15, v73
	v_mov_b32_e32 v72, v31
	v_fma_f32 v5, -0.5, v5, v15
	v_add_f32_e32 v2, v2, v66
	v_fmamk_f32 v6, v8, 0xbf5db3d7, v4
	v_fmac_f32_e32 v4, 0x3f5db3d7, v8
	buffer_load_dword v8, off, s[20:23], 0 offset:416 ; 4-byte Folded Reload
	v_add_f32_e32 v3, v3, v67
	v_fmamk_f32 v7, v9, 0x3f5db3d7, v5
	v_fmac_f32_e32 v5, 0xbf5db3d7, v9
	v_mov_b32_e32 v66, v44
	v_mov_b32_e32 v67, v42
	s_waitcnt vmcnt(1)
	ds_write2_b64 v10, v[2:3], v[6:7] offset1:3
	ds_write_b64 v10, v[4:5] offset:48
	v_add_f32_e32 v2, v26, v64
	v_add_f32_e32 v3, v16, v26
	;; [unrolled: 1-line block ×3, first 2 shown]
	v_sub_f32_e32 v6, v27, v65
	v_sub_f32_e32 v7, v26, v64
	v_fma_f32 v16, -0.5, v2, v16
	v_add_f32_e32 v2, v3, v64
	v_add_f32_e32 v3, v4, v65
	;; [unrolled: 1-line block ×3, first 2 shown]
	v_add_nc_u32_e32 v65, 0x2d80, v75
	v_mov_b32_e32 v64, v29
	v_fmac_f32_e32 v17, -0.5, v4
	v_fmamk_f32 v4, v6, 0xbf5db3d7, v16
	v_fmac_f32_e32 v16, 0x3f5db3d7, v6
	v_sub_f32_e32 v6, v25, v23
	v_fmamk_f32 v5, v7, 0x3f5db3d7, v17
	v_fmac_f32_e32 v17, 0xbf5db3d7, v7
	v_sub_f32_e32 v7, v24, v22
	s_waitcnt vmcnt(0)
	ds_write2_b64 v8, v[2:3], v[4:5] offset1:3
	ds_write_b64 v8, v[16:17] offset:48
	buffer_load_dword v8, off, s[20:23], 0 offset:424 ; 4-byte Folded Reload
	v_add_f32_e32 v2, v24, v22
	v_add_f32_e32 v3, v0, v24
	v_add_f32_e32 v4, v1, v25
	v_fma_f32 v0, -0.5, v2, v0
	v_add_f32_e32 v2, v3, v22
	v_add_f32_e32 v3, v4, v23
	;; [unrolled: 1-line block ×3, first 2 shown]
	v_fmac_f32_e32 v1, -0.5, v4
	v_fmamk_f32 v4, v6, 0xbf5db3d7, v0
	v_fmac_f32_e32 v0, 0x3f5db3d7, v6
	v_fmamk_f32 v5, v7, 0x3f5db3d7, v1
	v_fmac_f32_e32 v1, 0xbf5db3d7, v7
	s_waitcnt vmcnt(0)
	ds_write2_b64 v8, v[2:3], v[4:5] offset1:3
	ds_write_b64 v8, v[0:1] offset:48
	s_waitcnt lgkmcnt(0)
	s_barrier
	buffer_gl0_inv
	ds_read_b64 v[0:1], v75 offset:50544
	s_waitcnt lgkmcnt(0)
	v_mul_f32_e32 v22, v37, v1
	v_fmac_f32_e32 v22, v36, v0
	v_mul_f32_e32 v0, v37, v0
	v_fma_f32 v23, v36, v1, -v0
	ds_read2_b64 v[0:3], v44 offset1:243
	s_waitcnt lgkmcnt(0)
	v_mul_f32_e32 v24, v35, v3
	v_mul_f32_e32 v26, v39, v1
	v_fmac_f32_e32 v24, v34, v2
	v_mul_f32_e32 v2, v35, v2
	v_fmac_f32_e32 v26, v38, v0
	v_mul_f32_e32 v0, v39, v0
	v_fma_f32 v25, v34, v3, -v2
	v_fma_f32 v27, v38, v1, -v0
	ds_read2_b64 v[0:3], v30 offset0:8 offset1:251
	s_waitcnt lgkmcnt(0)
	v_mul_f32_e32 v32, v41, v3
	v_mul_f32_e32 v34, v51, v1
	v_fmac_f32_e32 v32, v40, v2
	v_mul_f32_e32 v2, v41, v2
	v_fmac_f32_e32 v34, v50, v0
	v_mul_f32_e32 v0, v51, v0
	v_fma_f32 v33, v40, v3, -v2
	v_fma_f32 v35, v50, v1, -v0
	ds_read2_b64 v[0:3], v89 offset0:10 offset1:253
	;; [unrolled: 10-line block ×3, first 2 shown]
	s_waitcnt lgkmcnt(0)
	v_mul_f32_e32 v56, v59, v3
	v_fmac_f32_e32 v56, v58, v2
	v_mul_f32_e32 v2, v59, v2
	v_fma_f32 v57, v58, v3, -v2
	v_mul_f32_e32 v58, v55, v1
	v_fmac_f32_e32 v58, v54, v0
	v_mul_f32_e32 v0, v55, v0
	v_fma_f32 v54, v54, v1, -v0
	ds_read2_b64 v[0:3], v42 offset0:4 offset1:247
	s_waitcnt lgkmcnt(0)
	v_mul_f32_e32 v55, v53, v3
	v_fmac_f32_e32 v55, v52, v2
	v_mul_f32_e32 v2, v53, v2
	v_fma_f32 v52, v52, v3, -v2
	s_clause 0x3
	buffer_load_dword v2, off, s[20:23], 0 offset:668
	buffer_load_dword v3, off, s[20:23], 0 offset:672
	;; [unrolled: 1-line block ×4, first 2 shown]
	s_waitcnt vmcnt(2)
	v_mul_f32_e32 v53, v3, v1
	v_fmac_f32_e32 v53, v2, v0
	v_mul_f32_e32 v0, v3, v0
	v_fma_f32 v48, v2, v1, -v0
	ds_read2_b64 v[0:3], v29 offset0:12 offset1:255
	s_waitcnt vmcnt(0) lgkmcnt(0)
	v_mul_f32_e32 v49, v5, v3
	v_fmac_f32_e32 v49, v4, v2
	v_mul_f32_e32 v2, v5, v2
	v_fma_f32 v50, v4, v3, -v2
	s_clause 0x3
	buffer_load_dword v4, off, s[20:23], 0 offset:652
	buffer_load_dword v5, off, s[20:23], 0 offset:656
	;; [unrolled: 1-line block ×4, first 2 shown]
	s_waitcnt vmcnt(0)
	v_mul_f32_e32 v51, v7, v1
	v_fmac_f32_e32 v51, v6, v0
	v_mul_f32_e32 v0, v7, v0
	v_fma_f32 v46, v6, v1, -v0
	ds_read2_b64 v[0:3], v45 offset0:6 offset1:249
	s_waitcnt lgkmcnt(0)
	v_mul_f32_e32 v47, v5, v3
	v_fmac_f32_e32 v47, v4, v2
	v_mul_f32_e32 v2, v5, v2
	v_fma_f32 v44, v4, v3, -v2
	s_clause 0x3
	buffer_load_dword v2, off, s[20:23], 0 offset:428
	buffer_load_dword v3, off, s[20:23], 0 offset:432
	;; [unrolled: 1-line block ×4, first 2 shown]
	s_waitcnt vmcnt(2)
	v_mul_f32_e32 v45, v3, v1
	v_fmac_f32_e32 v45, v2, v0
	v_mul_f32_e32 v0, v3, v0
	v_fma_f32 v40, v2, v1, -v0
	ds_read2_b64 v[0:3], v43 offset0:6 offset1:249
	s_clause 0x3
	buffer_load_dword v9, off, s[20:23], 0 offset:464
	buffer_load_dword v10, off, s[20:23], 0 offset:468
	;; [unrolled: 1-line block ×4, first 2 shown]
	ds_read2_b64 v[14:17], v65 offset0:2 offset1:245
	s_waitcnt vmcnt(4) lgkmcnt(1)
	v_mul_f32_e32 v41, v5, v3
	v_fmac_f32_e32 v41, v4, v2
	v_mul_f32_e32 v2, v5, v2
	v_fma_f32 v42, v4, v3, -v2
	s_waitcnt vmcnt(0)
	v_mul_f32_e32 v6, v12, v1
	v_fmac_f32_e32 v6, v11, v0
	v_mul_f32_e32 v0, v12, v0
	v_fma_f32 v7, v11, v1, -v0
	ds_read2_b64 v[0:3], v255 offset0:8 offset1:251
	s_waitcnt lgkmcnt(0)
	v_mul_f32_e32 v8, v10, v3
	v_fmac_f32_e32 v8, v9, v2
	v_mul_f32_e32 v2, v10, v2
	v_sub_f32_e32 v59, v8, v6
	v_fma_f32 v9, v9, v3, -v2
	ds_read2_b64 v[2:5], v75 offset1:243
	v_sub_f32_e32 v43, v9, v7
	s_waitcnt lgkmcnt(0)
	v_add_f32_e32 v11, v3, v9
	v_add_f32_e32 v10, v2, v8
	;; [unrolled: 1-line block ×6, first 2 shown]
	ds_read2_b64 v[10:13], v74 offset0:12 offset1:255
	v_fma_f32 v3, -0.5, v7, v3
	v_fma_f32 v2, -0.5, v9, v2
	ds_read2_b64 v[6:9], v253 offset0:6 offset1:249
	s_waitcnt lgkmcnt(0)
	s_barrier
	buffer_gl0_inv
	buffer_load_dword v28, off, s[20:23], 0 offset:460 ; 4-byte Folded Reload
	v_fmamk_f32 v20, v43, 0xbf5db3d7, v2
	v_fmamk_f32 v21, v59, 0x3f5db3d7, v3
	v_fmac_f32_e32 v2, 0x3f5db3d7, v43
	v_fmac_f32_e32 v3, 0xbf5db3d7, v59
	s_waitcnt vmcnt(0)
	ds_write2_b64 v28, v[18:19], v[20:21] offset1:9
	ds_write_b64 v28, v[2:3] offset:144
	buffer_load_dword v28, off, s[20:23], 0 offset:480 ; 4-byte Folded Reload
	v_add_f32_e32 v2, v45, v41
	v_add_f32_e32 v3, v4, v45
	;; [unrolled: 1-line block ×3, first 2 shown]
	v_sub_f32_e32 v20, v40, v42
	v_sub_f32_e32 v21, v45, v41
	v_fma_f32 v4, -0.5, v2, v4
	v_add_f32_e32 v2, v3, v41
	v_add_f32_e32 v3, v18, v42
	;; [unrolled: 1-line block ×3, first 2 shown]
	v_fmac_f32_e32 v5, -0.5, v18
	v_fmamk_f32 v18, v20, 0xbf5db3d7, v4
	v_fmac_f32_e32 v4, 0x3f5db3d7, v20
	buffer_load_dword v20, off, s[20:23], 0 offset:488 ; 4-byte Folded Reload
	v_fmamk_f32 v19, v21, 0x3f5db3d7, v5
	v_fmac_f32_e32 v5, 0xbf5db3d7, v21
	s_waitcnt vmcnt(1)
	ds_write_b64 v28, v[4:5] offset:144
	v_add_f32_e32 v4, v47, v51
	ds_write2_b64 v28, v[2:3], v[18:19] offset1:9
	v_sub_f32_e32 v18, v44, v46
	v_add_f32_e32 v2, v6, v47
	v_add_f32_e32 v5, v44, v46
	v_fma_f32 v4, -0.5, v4, v6
	v_add_f32_e32 v3, v7, v44
	v_sub_f32_e32 v19, v47, v51
	v_add_f32_e32 v2, v2, v51
	v_fma_f32 v5, -0.5, v5, v7
	v_fmamk_f32 v6, v18, 0xbf5db3d7, v4
	v_fmac_f32_e32 v4, 0x3f5db3d7, v18
	buffer_load_dword v18, off, s[20:23], 0 offset:484 ; 4-byte Folded Reload
	v_add_f32_e32 v3, v3, v46
	v_fmamk_f32 v7, v19, 0x3f5db3d7, v5
	v_fmac_f32_e32 v5, 0xbf5db3d7, v19
	s_waitcnt vmcnt(1)
	ds_write2_b64 v20, v[2:3], v[6:7] offset1:9
	ds_write_b64 v20, v[4:5] offset:144
	v_add_f32_e32 v2, v53, v49
	v_add_f32_e32 v3, v8, v53
	;; [unrolled: 1-line block ×3, first 2 shown]
	v_sub_f32_e32 v6, v48, v50
	v_sub_f32_e32 v7, v53, v49
	v_fma_f32 v8, -0.5, v2, v8
	v_add_f32_e32 v2, v3, v49
	v_add_f32_e32 v3, v4, v50
	;; [unrolled: 1-line block ×3, first 2 shown]
	v_fmac_f32_e32 v9, -0.5, v4
	v_fmamk_f32 v4, v6, 0xbf5db3d7, v8
	v_fmac_f32_e32 v8, 0x3f5db3d7, v6
	v_fmamk_f32 v5, v7, 0x3f5db3d7, v9
	v_fmac_f32_e32 v9, 0xbf5db3d7, v7
	s_waitcnt vmcnt(0)
	ds_write2_b64 v18, v[2:3], v[4:5] offset1:9
	v_add_f32_e32 v4, v55, v58
	v_add_f32_e32 v2, v10, v55
	ds_write_b64 v18, v[8:9] offset:144
	v_sub_f32_e32 v8, v52, v54
	v_add_f32_e32 v5, v52, v54
	v_fma_f32 v4, -0.5, v4, v10
	buffer_load_dword v10, off, s[20:23], 0 offset:492 ; 4-byte Folded Reload
	v_add_f32_e32 v3, v11, v52
	v_sub_f32_e32 v9, v55, v58
	v_fma_f32 v5, -0.5, v5, v11
	v_fmamk_f32 v6, v8, 0xbf5db3d7, v4
	v_fmac_f32_e32 v4, 0x3f5db3d7, v8
	buffer_load_dword v8, off, s[20:23], 0 offset:496 ; 4-byte Folded Reload
	v_add_f32_e32 v2, v2, v58
	v_add_f32_e32 v3, v3, v54
	v_fmamk_f32 v7, v9, 0x3f5db3d7, v5
	v_fmac_f32_e32 v5, 0xbf5db3d7, v9
	v_sub_f32_e32 v9, v36, v34
	v_mov_b32_e32 v58, v66
	s_waitcnt vmcnt(1)
	ds_write2_b64 v10, v[2:3], v[6:7] offset1:9
	ds_write_b64 v10, v[4:5] offset:144
	v_add_f32_e32 v2, v38, v56
	v_add_f32_e32 v3, v12, v38
	;; [unrolled: 1-line block ×3, first 2 shown]
	v_sub_f32_e32 v6, v39, v57
	v_sub_f32_e32 v7, v38, v56
	v_fma_f32 v12, -0.5, v2, v12
	v_add_f32_e32 v2, v3, v56
	v_add_f32_e32 v3, v4, v57
	;; [unrolled: 1-line block ×3, first 2 shown]
	buffer_load_dword v10, off, s[20:23], 0 offset:504 ; 4-byte Folded Reload
	v_fmac_f32_e32 v13, -0.5, v4
	v_fmamk_f32 v4, v6, 0xbf5db3d7, v12
	v_fmac_f32_e32 v12, 0x3f5db3d7, v6
	v_fmamk_f32 v5, v7, 0x3f5db3d7, v13
	v_fmac_f32_e32 v13, 0xbf5db3d7, v7
	s_waitcnt vmcnt(1)
	ds_write2_b64 v8, v[2:3], v[4:5] offset1:9
	v_add_f32_e32 v4, v36, v34
	ds_write_b64 v8, v[12:13] offset:144
	v_sub_f32_e32 v8, v37, v35
	v_add_f32_e32 v5, v37, v35
	v_add_f32_e32 v2, v14, v36
	v_fma_f32 v4, -0.5, v4, v14
	v_add_f32_e32 v3, v15, v37
	v_fma_f32 v5, -0.5, v5, v15
	v_add_f32_e32 v2, v2, v34
	v_fmamk_f32 v6, v8, 0xbf5db3d7, v4
	v_fmac_f32_e32 v4, 0x3f5db3d7, v8
	buffer_load_dword v8, off, s[20:23], 0 offset:500 ; 4-byte Folded Reload
	v_add_f32_e32 v3, v3, v35
	v_fmamk_f32 v7, v9, 0x3f5db3d7, v5
	v_fmac_f32_e32 v5, 0xbf5db3d7, v9
	s_waitcnt vmcnt(1)
	ds_write2_b64 v10, v[2:3], v[6:7] offset1:9
	ds_write_b64 v10, v[4:5] offset:144
	v_add_f32_e32 v2, v26, v32
	v_add_f32_e32 v3, v16, v26
	;; [unrolled: 1-line block ×3, first 2 shown]
	v_sub_f32_e32 v6, v27, v33
	v_sub_f32_e32 v7, v26, v32
	v_fma_f32 v16, -0.5, v2, v16
	v_add_f32_e32 v2, v3, v32
	v_add_f32_e32 v3, v4, v33
	;; [unrolled: 1-line block ×3, first 2 shown]
	v_fmac_f32_e32 v17, -0.5, v4
	v_fmamk_f32 v4, v6, 0xbf5db3d7, v16
	v_fmac_f32_e32 v16, 0x3f5db3d7, v6
	v_sub_f32_e32 v6, v25, v23
	v_fmamk_f32 v5, v7, 0x3f5db3d7, v17
	v_fmac_f32_e32 v17, 0xbf5db3d7, v7
	v_sub_f32_e32 v7, v24, v22
	s_waitcnt vmcnt(0)
	ds_write2_b64 v8, v[2:3], v[4:5] offset1:9
	ds_write_b64 v8, v[16:17] offset:144
	buffer_load_dword v8, off, s[20:23], 0 offset:508 ; 4-byte Folded Reload
	v_add_f32_e32 v2, v24, v22
	v_add_f32_e32 v3, v0, v24
	;; [unrolled: 1-line block ×3, first 2 shown]
	v_fma_f32 v0, -0.5, v2, v0
	v_add_f32_e32 v2, v3, v22
	v_add_f32_e32 v3, v4, v23
	;; [unrolled: 1-line block ×3, first 2 shown]
	v_fmac_f32_e32 v1, -0.5, v4
	v_fmamk_f32 v4, v6, 0xbf5db3d7, v0
	v_fmac_f32_e32 v0, 0x3f5db3d7, v6
	v_fmamk_f32 v5, v7, 0x3f5db3d7, v1
	v_fmac_f32_e32 v1, 0xbf5db3d7, v7
	s_waitcnt vmcnt(0)
	ds_write2_b64 v8, v[2:3], v[4:5] offset1:9
	ds_write_b64 v8, v[0:1] offset:144
	s_waitcnt lgkmcnt(0)
	s_barrier
	buffer_gl0_inv
	ds_read_b64 v[0:1], v75 offset:50544
	s_waitcnt lgkmcnt(0)
	v_mul_f32_e32 v22, v127, v1
	v_fmac_f32_e32 v22, v126, v0
	v_mul_f32_e32 v0, v127, v0
	v_fma_f32 v23, v126, v1, -v0
	ds_read2_b64 v[0:3], v66 offset1:243
	v_mov_b32_e32 v66, v30
	s_waitcnt lgkmcnt(0)
	v_mul_f32_e32 v24, v125, v3
	v_mul_f32_e32 v26, v117, v1
	v_fmac_f32_e32 v24, v124, v2
	v_mul_f32_e32 v2, v125, v2
	v_fmac_f32_e32 v26, v116, v0
	v_mul_f32_e32 v0, v117, v0
	v_fma_f32 v25, v124, v3, -v2
	v_fma_f32 v27, v116, v1, -v0
	ds_read2_b64 v[0:3], v30 offset0:8 offset1:251
	s_waitcnt lgkmcnt(0)
	v_mul_f32_e32 v32, v119, v3
	v_mul_f32_e32 v34, v103, v1
	v_fmac_f32_e32 v32, v118, v2
	v_mul_f32_e32 v2, v119, v2
	v_fmac_f32_e32 v34, v102, v0
	v_mul_f32_e32 v0, v103, v0
	v_fma_f32 v33, v118, v3, -v2
	v_fma_f32 v35, v102, v1, -v0
	ds_read2_b64 v[0:3], v89 offset0:10 offset1:253
	;; [unrolled: 10-line block ×3, first 2 shown]
	s_waitcnt lgkmcnt(0)
	v_mul_f32_e32 v40, v99, v3
	v_mul_f32_e32 v42, v63, v1
	v_fmac_f32_e32 v40, v98, v2
	v_mul_f32_e32 v2, v99, v2
	v_fmac_f32_e32 v42, v62, v0
	v_mul_f32_e32 v0, v63, v0
	v_mov_b32_e32 v63, v65
	v_fma_f32 v41, v98, v3, -v2
	v_fma_f32 v30, v62, v1, -v0
	ds_read2_b64 v[0:3], v67 offset0:4 offset1:247
	s_waitcnt lgkmcnt(0)
	v_mul_f32_e32 v31, v61, v3
	v_mul_f32_e32 v29, v85, v1
	v_fmac_f32_e32 v31, v60, v2
	v_mul_f32_e32 v2, v61, v2
	v_fmac_f32_e32 v29, v84, v0
	v_mul_f32_e32 v0, v85, v0
	v_fma_f32 v28, v60, v3, -v2
	v_fma_f32 v43, v84, v1, -v0
	ds_read2_b64 v[0:3], v64 offset0:12 offset1:255
	s_waitcnt lgkmcnt(0)
	v_mul_f32_e32 v44, v87, v3
	v_mul_f32_e32 v46, v83, v1
	v_fmac_f32_e32 v44, v86, v2
	v_mul_f32_e32 v2, v87, v2
	v_fmac_f32_e32 v46, v82, v0
	v_mul_f32_e32 v0, v83, v0
	;; [unrolled: 10-line block ×4, first 2 shown]
	v_fma_f32 v53, v78, v3, -v2
	v_fma_f32 v7, v70, v1, -v0
	ds_read2_b64 v[0:3], v255 offset0:8 offset1:251
	s_waitcnt lgkmcnt(0)
	v_mul_f32_e32 v8, v69, v3
	v_fmac_f32_e32 v8, v68, v2
	v_mul_f32_e32 v2, v69, v2
	v_sub_f32_e32 v55, v8, v6
	v_fma_f32 v9, v68, v3, -v2
	ds_read2_b64 v[2:5], v75 offset1:243
	v_sub_f32_e32 v54, v9, v7
	s_waitcnt lgkmcnt(0)
	v_add_f32_e32 v11, v3, v9
	v_add_f32_e32 v10, v2, v8
	;; [unrolled: 1-line block ×6, first 2 shown]
	v_fma_f32 v3, -0.5, v7, v3
	v_fma_f32 v2, -0.5, v9, v2
	ds_read2_b64 v[6:9], v253 offset0:6 offset1:249
	ds_read2_b64 v[10:13], v74 offset0:12 offset1:255
	;; [unrolled: 1-line block ×3, first 2 shown]
	s_waitcnt lgkmcnt(0)
	s_barrier
	buffer_gl0_inv
	buffer_load_dword v57, off, s[20:23], 0 offset:512 ; 4-byte Folded Reload
	v_fmamk_f32 v20, v54, 0xbf5db3d7, v2
	v_fmamk_f32 v21, v55, 0x3f5db3d7, v3
	v_fmac_f32_e32 v2, 0x3f5db3d7, v54
	v_fmac_f32_e32 v3, 0xbf5db3d7, v55
	s_waitcnt vmcnt(0)
	ds_write2_b64 v57, v[18:19], v[20:21] offset1:27
	ds_write_b64 v57, v[2:3] offset:432
	v_add_f32_e32 v2, v50, v52
	v_add_f32_e32 v3, v4, v50
	v_sub_f32_e32 v21, v50, v52
	buffer_load_dword v50, off, s[20:23], 0 offset:516 ; 4-byte Folded Reload
	v_add_f32_e32 v18, v5, v51
	v_fma_f32 v4, -0.5, v2, v4
	v_add_f32_e32 v2, v3, v52
	v_sub_f32_e32 v20, v51, v53
	v_add_f32_e32 v3, v18, v53
	v_add_f32_e32 v18, v51, v53
	v_fmac_f32_e32 v5, -0.5, v18
	v_fmamk_f32 v18, v20, 0xbf5db3d7, v4
	v_fmac_f32_e32 v4, 0x3f5db3d7, v20
	buffer_load_dword v20, off, s[20:23], 0 offset:520 ; 4-byte Folded Reload
	v_fmamk_f32 v19, v21, 0x3f5db3d7, v5
	v_fmac_f32_e32 v5, 0xbf5db3d7, v21
	s_waitcnt vmcnt(1)
	ds_write_b64 v50, v[4:5] offset:432
	v_add_f32_e32 v4, v48, v46
	ds_write2_b64 v50, v[2:3], v[18:19] offset1:27
	v_sub_f32_e32 v18, v49, v47
	v_add_f32_e32 v2, v6, v48
	v_add_f32_e32 v5, v49, v47
	v_fma_f32 v4, -0.5, v4, v6
	v_add_f32_e32 v3, v7, v49
	v_sub_f32_e32 v19, v48, v46
	v_add_f32_e32 v2, v2, v46
	v_fma_f32 v5, -0.5, v5, v7
	v_fmamk_f32 v6, v18, 0xbf5db3d7, v4
	v_fmac_f32_e32 v4, 0x3f5db3d7, v18
	buffer_load_dword v18, off, s[20:23], 0 offset:524 ; 4-byte Folded Reload
	v_add_f32_e32 v3, v3, v47
	v_fmamk_f32 v7, v19, 0x3f5db3d7, v5
	v_fmac_f32_e32 v5, 0xbf5db3d7, v19
	s_waitcnt vmcnt(1)
	ds_write2_b64 v20, v[2:3], v[6:7] offset1:27
	ds_write_b64 v20, v[4:5] offset:432
	v_add_f32_e32 v2, v29, v44
	v_add_f32_e32 v3, v8, v29
	;; [unrolled: 1-line block ×3, first 2 shown]
	v_sub_f32_e32 v6, v43, v45
	v_sub_f32_e32 v7, v29, v44
	v_fma_f32 v8, -0.5, v2, v8
	v_add_f32_e32 v2, v3, v44
	v_add_f32_e32 v3, v4, v45
	;; [unrolled: 1-line block ×3, first 2 shown]
	v_fmac_f32_e32 v9, -0.5, v4
	v_fmamk_f32 v4, v6, 0xbf5db3d7, v8
	v_fmac_f32_e32 v8, 0x3f5db3d7, v6
	v_fmamk_f32 v5, v7, 0x3f5db3d7, v9
	v_fmac_f32_e32 v9, 0xbf5db3d7, v7
	s_waitcnt vmcnt(0)
	ds_write2_b64 v18, v[2:3], v[4:5] offset1:27
	v_add_f32_e32 v4, v31, v42
	v_add_f32_e32 v2, v10, v31
	ds_write_b64 v18, v[8:9] offset:432
	v_sub_f32_e32 v8, v28, v30
	v_add_f32_e32 v5, v28, v30
	v_fma_f32 v4, -0.5, v4, v10
	buffer_load_dword v10, off, s[20:23], 0 offset:528 ; 4-byte Folded Reload
	v_add_f32_e32 v3, v11, v28
	v_sub_f32_e32 v9, v31, v42
	v_fma_f32 v5, -0.5, v5, v11
	v_fmamk_f32 v6, v8, 0xbf5db3d7, v4
	v_fmac_f32_e32 v4, 0x3f5db3d7, v8
	buffer_load_dword v8, off, s[20:23], 0 offset:532 ; 4-byte Folded Reload
	v_add_f32_e32 v2, v2, v42
	v_add_f32_e32 v3, v3, v30
	v_fmamk_f32 v7, v9, 0x3f5db3d7, v5
	v_fmac_f32_e32 v5, 0xbf5db3d7, v9
	v_sub_f32_e32 v9, v36, v34
	s_waitcnt vmcnt(1)
	ds_write2_b64 v10, v[2:3], v[6:7] offset1:27
	ds_write_b64 v10, v[4:5] offset:432
	v_add_f32_e32 v2, v38, v40
	v_add_f32_e32 v3, v12, v38
	;; [unrolled: 1-line block ×3, first 2 shown]
	v_sub_f32_e32 v6, v39, v41
	v_sub_f32_e32 v7, v38, v40
	v_fma_f32 v12, -0.5, v2, v12
	v_add_f32_e32 v2, v3, v40
	v_add_f32_e32 v3, v4, v41
	;; [unrolled: 1-line block ×3, first 2 shown]
	buffer_load_dword v10, off, s[20:23], 0 offset:536 ; 4-byte Folded Reload
	v_fmac_f32_e32 v13, -0.5, v4
	v_fmamk_f32 v4, v6, 0xbf5db3d7, v12
	v_fmac_f32_e32 v12, 0x3f5db3d7, v6
	v_fmamk_f32 v5, v7, 0x3f5db3d7, v13
	v_fmac_f32_e32 v13, 0xbf5db3d7, v7
	s_waitcnt vmcnt(1)
	ds_write2_b64 v8, v[2:3], v[4:5] offset1:27
	v_add_f32_e32 v4, v36, v34
	ds_write_b64 v8, v[12:13] offset:432
	v_sub_f32_e32 v8, v37, v35
	v_add_f32_e32 v5, v37, v35
	v_add_f32_e32 v2, v14, v36
	v_fma_f32 v4, -0.5, v4, v14
	v_add_f32_e32 v3, v15, v37
	v_fma_f32 v5, -0.5, v5, v15
	v_add_f32_e32 v2, v2, v34
	v_fmamk_f32 v6, v8, 0xbf5db3d7, v4
	v_fmac_f32_e32 v4, 0x3f5db3d7, v8
	buffer_load_dword v8, off, s[20:23], 0 offset:540 ; 4-byte Folded Reload
	v_add_f32_e32 v3, v3, v35
	v_fmamk_f32 v7, v9, 0x3f5db3d7, v5
	v_fmac_f32_e32 v5, 0xbf5db3d7, v9
	s_waitcnt vmcnt(1)
	ds_write2_b64 v10, v[2:3], v[6:7] offset1:27
	ds_write_b64 v10, v[4:5] offset:432
	v_add_f32_e32 v2, v26, v32
	v_add_f32_e32 v5, v27, v33
	;; [unrolled: 1-line block ×3, first 2 shown]
	v_sub_f32_e32 v6, v27, v33
	v_sub_f32_e32 v7, v26, v32
	v_fma_f32 v16, -0.5, v2, v16
	v_add_f32_e32 v2, v17, v27
	v_fmac_f32_e32 v17, -0.5, v5
	v_add_f32_e32 v3, v2, v33
	v_add_f32_e32 v2, v4, v32
	v_fmamk_f32 v4, v6, 0xbf5db3d7, v16
	v_fmamk_f32 v5, v7, 0x3f5db3d7, v17
	v_fmac_f32_e32 v16, 0x3f5db3d7, v6
	v_fmac_f32_e32 v17, 0xbf5db3d7, v7
	v_sub_f32_e32 v6, v25, v23
	v_sub_f32_e32 v7, v24, v22
	s_waitcnt vmcnt(0)
	ds_write2_b64 v8, v[2:3], v[4:5] offset1:27
	ds_write_b64 v8, v[16:17] offset:432
	buffer_load_dword v8, off, s[20:23], 0 offset:544 ; 4-byte Folded Reload
	v_add_f32_e32 v2, v24, v22
	v_add_f32_e32 v4, v0, v24
	;; [unrolled: 1-line block ×3, first 2 shown]
	v_fma_f32 v0, -0.5, v2, v0
	v_add_f32_e32 v2, v25, v23
	v_add_f32_e32 v3, v3, v23
	v_fmac_f32_e32 v1, -0.5, v2
	v_add_f32_e32 v2, v4, v22
	v_fmamk_f32 v4, v6, 0xbf5db3d7, v0
	v_fmac_f32_e32 v0, 0x3f5db3d7, v6
	v_fmamk_f32 v5, v7, 0x3f5db3d7, v1
	v_fmac_f32_e32 v1, 0xbf5db3d7, v7
	s_waitcnt vmcnt(0)
	ds_write2_b64 v8, v[2:3], v[4:5] offset1:27
	ds_write_b64 v8, v[0:1] offset:432
	s_waitcnt lgkmcnt(0)
	s_barrier
	buffer_gl0_inv
	ds_read_b64 v[1:2], v75 offset:50544
	ds_read2_b64 v[4:7], v58 offset1:243
	s_waitcnt lgkmcnt(1)
	v_mul_f32_e32 v0, v155, v2
	s_waitcnt lgkmcnt(0)
	v_mul_f32_e32 v26, v141, v5
	v_mul_f32_e32 v3, v153, v6
	v_fmac_f32_e32 v0, v154, v1
	v_mul_f32_e32 v1, v155, v1
	v_fmac_f32_e32 v26, v140, v4
	v_mul_f32_e32 v4, v141, v4
	v_fma_f32 v3, v152, v7, -v3
	v_fma_f32 v2, v154, v2, -v1
	v_mul_f32_e32 v1, v153, v7
	v_fma_f32 v27, v140, v5, -v4
	v_fmac_f32_e32 v1, v152, v6
	ds_read2_b64 v[4:7], v66 offset0:8 offset1:251
	s_waitcnt lgkmcnt(0)
	v_mul_f32_e32 v28, v143, v7
	v_mul_f32_e32 v30, v139, v5
	v_fmac_f32_e32 v28, v142, v6
	v_mul_f32_e32 v6, v143, v6
	v_fmac_f32_e32 v30, v138, v4
	v_mul_f32_e32 v4, v139, v4
	v_fma_f32 v29, v142, v7, -v6
	v_fma_f32 v31, v138, v5, -v4
	ds_read2_b64 v[4:7], v89 offset0:10 offset1:253
	s_waitcnt lgkmcnt(0)
	v_mul_f32_e32 v32, v137, v7
	v_mul_f32_e32 v34, v133, v5
	v_fmac_f32_e32 v32, v136, v6
	v_mul_f32_e32 v6, v137, v6
	v_fmac_f32_e32 v34, v132, v4
	v_mul_f32_e32 v4, v133, v4
	v_fma_f32 v33, v136, v7, -v6
	v_fma_f32 v35, v132, v5, -v4
	;; [unrolled: 10-line block ×7, first 2 shown]
	ds_read2_b64 v[4:7], v255 offset0:8 offset1:251
	s_waitcnt lgkmcnt(0)
	v_mul_f32_e32 v12, v93, v7
	v_fmac_f32_e32 v12, v92, v6
	v_mul_f32_e32 v6, v93, v6
	v_sub_f32_e32 v55, v12, v10
	v_fma_f32 v13, v92, v7, -v6
	ds_read2_b64 v[6:9], v75 offset1:243
	v_add_f32_e32 v15, v13, v11
	v_sub_f32_e32 v54, v13, v11
	s_waitcnt lgkmcnt(0)
	v_add_f32_e32 v14, v7, v13
	v_fma_f32 v7, -0.5, v15, v7
	v_add_f32_e32 v23, v14, v11
	v_add_f32_e32 v11, v6, v12
	v_fmamk_f32 v25, v55, 0x3f5db3d7, v7
	v_fmac_f32_e32 v7, 0xbf5db3d7, v55
	v_add_f32_e32 v22, v11, v10
	v_add_f32_e32 v11, v12, v10
	v_fma_f32 v6, -0.5, v11, v6
	ds_read2_b64 v[10:13], v253 offset0:6 offset1:249
	ds_read2_b64 v[14:17], v74 offset0:12 offset1:255
	;; [unrolled: 1-line block ×3, first 2 shown]
	s_waitcnt lgkmcnt(0)
	s_barrier
	buffer_gl0_inv
	buffer_load_dword v57, off, s[20:23], 0 offset:580 ; 4-byte Folded Reload
	v_fmamk_f32 v24, v54, 0xbf5db3d7, v6
	v_fmac_f32_e32 v6, 0x3f5db3d7, v54
	s_waitcnt vmcnt(0)
	ds_write2_b64 v57, v[22:23], v[24:25] offset1:81
	ds_write_b64 v57, v[6:7] offset:1296
	v_add_f32_e32 v6, v50, v52
	v_add_f32_e32 v22, v8, v50
	v_sub_f32_e32 v25, v50, v52
	buffer_load_dword v50, off, s[20:23], 0 offset:548 ; 4-byte Folded Reload
	v_add_f32_e32 v7, v9, v51
	v_fma_f32 v8, -0.5, v6, v8
	v_add_f32_e32 v6, v51, v53
	v_sub_f32_e32 v24, v51, v53
	v_add_f32_e32 v7, v7, v53
	v_fmac_f32_e32 v9, -0.5, v6
	v_add_f32_e32 v6, v22, v52
	v_fmamk_f32 v22, v24, 0xbf5db3d7, v8
	v_fmac_f32_e32 v8, 0x3f5db3d7, v24
	buffer_load_dword v24, off, s[20:23], 0 offset:552 ; 4-byte Folded Reload
	v_fmamk_f32 v23, v25, 0x3f5db3d7, v9
	v_fmac_f32_e32 v9, 0xbf5db3d7, v25
	s_waitcnt vmcnt(1)
	ds_write_b64 v50, v[8:9] offset:1296
	v_add_f32_e32 v8, v48, v46
	ds_write2_b64 v50, v[6:7], v[22:23] offset1:81
	v_add_f32_e32 v6, v11, v49
	v_sub_f32_e32 v22, v49, v47
	v_add_f32_e32 v9, v49, v47
	v_fma_f32 v8, -0.5, v8, v10
	v_sub_f32_e32 v23, v48, v46
	v_add_f32_e32 v7, v6, v47
	v_add_f32_e32 v6, v10, v48
	v_fma_f32 v9, -0.5, v9, v11
	v_fmamk_f32 v10, v22, 0xbf5db3d7, v8
	v_fmac_f32_e32 v8, 0x3f5db3d7, v22
	buffer_load_dword v22, off, s[20:23], 0 offset:556 ; 4-byte Folded Reload
	v_add_f32_e32 v6, v6, v46
	v_fmamk_f32 v11, v23, 0x3f5db3d7, v9
	v_fmac_f32_e32 v9, 0xbf5db3d7, v23
	s_waitcnt vmcnt(1)
	ds_write2_b64 v24, v[6:7], v[10:11] offset1:81
	ds_write_b64 v24, v[8:9] offset:1296
	v_add_f32_e32 v6, v42, v44
	v_add_f32_e32 v9, v43, v45
	;; [unrolled: 1-line block ×3, first 2 shown]
	v_sub_f32_e32 v10, v43, v45
	v_sub_f32_e32 v11, v42, v44
	v_fma_f32 v12, -0.5, v6, v12
	v_add_f32_e32 v6, v13, v43
	v_fmac_f32_e32 v13, -0.5, v9
	v_add_f32_e32 v7, v6, v45
	v_add_f32_e32 v6, v8, v44
	v_fmamk_f32 v8, v10, 0xbf5db3d7, v12
	v_fmamk_f32 v9, v11, 0x3f5db3d7, v13
	v_fmac_f32_e32 v12, 0x3f5db3d7, v10
	v_fmac_f32_e32 v13, 0xbf5db3d7, v11
	s_waitcnt vmcnt(0)
	ds_write2_b64 v22, v[6:7], v[8:9] offset1:81
	v_add_f32_e32 v8, v40, v38
	v_add_f32_e32 v6, v14, v40
	ds_write_b64 v22, v[12:13] offset:1296
	v_sub_f32_e32 v12, v41, v39
	v_add_f32_e32 v9, v41, v39
	v_fma_f32 v8, -0.5, v8, v14
	buffer_load_dword v14, off, s[20:23], 0 offset:560 ; 4-byte Folded Reload
	v_add_f32_e32 v7, v15, v41
	v_sub_f32_e32 v13, v40, v38
	v_fma_f32 v9, -0.5, v9, v15
	v_fmamk_f32 v10, v12, 0xbf5db3d7, v8
	v_fmac_f32_e32 v8, 0x3f5db3d7, v12
	buffer_load_dword v12, off, s[20:23], 0 offset:564 ; 4-byte Folded Reload
	v_add_f32_e32 v6, v6, v38
	v_add_f32_e32 v7, v7, v39
	v_fmamk_f32 v11, v13, 0x3f5db3d7, v9
	v_fmac_f32_e32 v9, 0xbf5db3d7, v13
	v_sub_f32_e32 v13, v32, v30
	s_waitcnt vmcnt(1)
	ds_write2_b64 v14, v[6:7], v[10:11] offset1:81
	ds_write_b64 v14, v[8:9] offset:1296
	v_add_f32_e32 v6, v34, v36
	v_add_f32_e32 v9, v35, v37
	;; [unrolled: 1-line block ×3, first 2 shown]
	v_sub_f32_e32 v10, v35, v37
	v_sub_f32_e32 v11, v34, v36
	v_fma_f32 v16, -0.5, v6, v16
	v_add_f32_e32 v6, v17, v35
	v_fmac_f32_e32 v17, -0.5, v9
	buffer_load_dword v14, off, s[20:23], 0 offset:568 ; 4-byte Folded Reload
	v_add_f32_e32 v7, v6, v37
	v_add_f32_e32 v6, v8, v36
	v_fmamk_f32 v8, v10, 0xbf5db3d7, v16
	v_fmamk_f32 v9, v11, 0x3f5db3d7, v17
	v_fmac_f32_e32 v16, 0x3f5db3d7, v10
	v_fmac_f32_e32 v17, 0xbf5db3d7, v11
	s_waitcnt vmcnt(1)
	ds_write2_b64 v12, v[6:7], v[8:9] offset1:81
	v_add_f32_e32 v8, v32, v30
	ds_write_b64 v12, v[16:17] offset:1296
	v_sub_f32_e32 v12, v33, v31
	v_add_f32_e32 v9, v33, v31
	v_add_f32_e32 v6, v18, v32
	v_fma_f32 v8, -0.5, v8, v18
	v_add_f32_e32 v7, v19, v33
	v_fma_f32 v9, -0.5, v9, v19
	v_add_f32_e32 v6, v6, v30
	v_fmamk_f32 v10, v12, 0xbf5db3d7, v8
	v_fmac_f32_e32 v8, 0x3f5db3d7, v12
	buffer_load_dword v12, off, s[20:23], 0 offset:572 ; 4-byte Folded Reload
	v_add_f32_e32 v7, v7, v31
	v_fmamk_f32 v11, v13, 0x3f5db3d7, v9
	v_fmac_f32_e32 v9, 0xbf5db3d7, v13
	s_waitcnt vmcnt(1)
	ds_write2_b64 v14, v[6:7], v[10:11] offset1:81
	ds_write_b64 v14, v[8:9] offset:1296
	v_add_f32_e32 v6, v26, v28
	v_add_f32_e32 v9, v27, v29
	;; [unrolled: 1-line block ×3, first 2 shown]
	v_sub_f32_e32 v10, v27, v29
	v_sub_f32_e32 v11, v26, v28
	v_fma_f32 v20, -0.5, v6, v20
	v_add_f32_e32 v6, v21, v27
	v_fmac_f32_e32 v21, -0.5, v9
	v_add_f32_e32 v7, v6, v29
	v_add_f32_e32 v6, v8, v28
	v_fmamk_f32 v8, v10, 0xbf5db3d7, v20
	v_fmamk_f32 v9, v11, 0x3f5db3d7, v21
	v_fmac_f32_e32 v20, 0x3f5db3d7, v10
	v_fmac_f32_e32 v21, 0xbf5db3d7, v11
	s_waitcnt vmcnt(0)
	ds_write2_b64 v12, v[6:7], v[8:9] offset1:81
	v_add_f32_e32 v6, v1, v0
	v_add_f32_e32 v7, v4, v1
	;; [unrolled: 1-line block ×3, first 2 shown]
	ds_write_b64 v12, v[20:21] offset:1296
	v_fma_f32 v4, -0.5, v6, v4
	v_add_f32_e32 v6, v7, v0
	v_add_f32_e32 v7, v8, v2
	;; [unrolled: 1-line block ×3, first 2 shown]
	v_sub_f32_e32 v2, v3, v2
	v_sub_f32_e32 v3, v1, v0
	v_fmac_f32_e32 v5, -0.5, v8
	buffer_load_dword v8, off, s[20:23], 0 offset:576 ; 4-byte Folded Reload
	v_fmamk_f32 v0, v2, 0xbf5db3d7, v4
	v_fmac_f32_e32 v4, 0x3f5db3d7, v2
	v_fmamk_f32 v1, v3, 0x3f5db3d7, v5
	v_fmac_f32_e32 v5, 0xbf5db3d7, v3
	s_waitcnt vmcnt(0)
	ds_write2_b64 v8, v[6:7], v[0:1] offset1:81
	ds_write_b64 v8, v[4:5] offset:1296
	s_waitcnt lgkmcnt(0)
	s_barrier
	buffer_gl0_inv
	ds_read_b64 v[0:1], v75 offset:50544
	s_waitcnt lgkmcnt(0)
	v_mul_f32_e32 v22, v187, v1
	v_fmac_f32_e32 v22, v186, v0
	v_mul_f32_e32 v0, v187, v0
	v_fma_f32 v23, v186, v1, -v0
	ds_read2_b64 v[0:3], v58 offset1:243
	s_waitcnt lgkmcnt(0)
	v_mul_f32_e32 v24, v185, v3
	v_mul_f32_e32 v26, v181, v1
	v_fmac_f32_e32 v24, v184, v2
	v_mul_f32_e32 v2, v185, v2
	v_fmac_f32_e32 v26, v180, v0
	v_mul_f32_e32 v0, v181, v0
	v_fma_f32 v25, v184, v3, -v2
	v_fma_f32 v27, v180, v1, -v0
	ds_read2_b64 v[0:3], v66 offset0:8 offset1:251
	s_waitcnt lgkmcnt(0)
	v_mul_f32_e32 v28, v183, v3
	v_mul_f32_e32 v30, v179, v1
	v_fmac_f32_e32 v28, v182, v2
	v_mul_f32_e32 v2, v183, v2
	v_fmac_f32_e32 v30, v178, v0
	v_mul_f32_e32 v0, v179, v0
	v_fma_f32 v29, v182, v3, -v2
	v_fma_f32 v31, v178, v1, -v0
	ds_read2_b64 v[0:3], v89 offset0:10 offset1:253
	;; [unrolled: 10-line block ×7, first 2 shown]
	s_waitcnt lgkmcnt(0)
	v_mul_f32_e32 v6, v115, v1
	v_mul_f32_e32 v52, v115, v3
	v_fmac_f32_e32 v6, v114, v0
	v_mul_f32_e32 v0, v115, v0
	v_fmac_f32_e32 v52, v114, v2
	v_fma_f32 v7, v114, v1, -v0
	v_mul_f32_e32 v0, v115, v2
	v_fma_f32 v53, v114, v3, -v0
	ds_read2_b64 v[0:3], v255 offset0:8 offset1:251
	s_waitcnt lgkmcnt(0)
	v_mul_f32_e32 v8, v113, v3
	v_fmac_f32_e32 v8, v112, v2
	v_mul_f32_e32 v2, v113, v2
	v_sub_f32_e32 v55, v8, v6
	v_fma_f32 v9, v112, v3, -v2
	ds_read2_b64 v[2:5], v75 offset1:243
	v_add_f32_e32 v11, v9, v7
	v_sub_f32_e32 v54, v9, v7
	s_waitcnt lgkmcnt(0)
	v_add_f32_e32 v10, v3, v9
	v_fma_f32 v3, -0.5, v11, v3
	v_add_f32_e32 v19, v10, v7
	v_add_f32_e32 v7, v2, v8
	v_fmamk_f32 v21, v55, 0x3f5db3d7, v3
	v_fmac_f32_e32 v3, 0xbf5db3d7, v55
	v_add_f32_e32 v18, v7, v6
	v_add_f32_e32 v7, v8, v6
	v_fma_f32 v2, -0.5, v7, v2
	ds_read2_b64 v[6:9], v253 offset0:6 offset1:249
	ds_read2_b64 v[10:13], v74 offset0:12 offset1:255
	;; [unrolled: 1-line block ×3, first 2 shown]
	s_waitcnt lgkmcnt(0)
	s_barrier
	buffer_gl0_inv
	v_fmamk_f32 v20, v54, 0xbf5db3d7, v2
	v_fmac_f32_e32 v2, 0x3f5db3d7, v54
	v_mov_b32_e32 v65, v58
	ds_write2_b64 v75, v[18:19], v[20:21] offset1:243
	buffer_load_dword v20, off, s[20:23], 0 offset:584 ; 4-byte Folded Reload
	v_add_f32_e32 v18, v4, v50
	v_add_f32_e32 v19, v5, v51
	v_sub_f32_e32 v21, v42, v44
	v_add_f32_e32 v18, v18, v52
	v_add_f32_e32 v19, v19, v53
	ds_write2_b64 v253, v[2:3], v[18:19] offset0:6 offset1:249
	v_add_f32_e32 v2, v50, v52
	v_sub_f32_e32 v3, v51, v53
	v_sub_f32_e32 v18, v50, v52
	;; [unrolled: 1-line block ×3, first 2 shown]
	v_fma_f32 v4, -0.5, v2, v4
	v_add_f32_e32 v2, v51, v53
	v_fmac_f32_e32 v5, -0.5, v2
	v_fmamk_f32 v2, v3, 0xbf5db3d7, v4
	v_fmac_f32_e32 v4, 0x3f5db3d7, v3
	v_fmamk_f32 v3, v18, 0x3f5db3d7, v5
	v_fmac_f32_e32 v5, 0xbf5db3d7, v18
	v_sub_f32_e32 v18, v49, v47
	ds_write2_b64 v74, v[2:3], v[4:5] offset0:12 offset1:255
	v_add_f32_e32 v2, v7, v49
	v_add_f32_e32 v5, v49, v47
	;; [unrolled: 1-line block ×5, first 2 shown]
	v_fma_f32 v4, -0.5, v4, v6
	v_fma_f32 v5, -0.5, v5, v7
	v_add_f32_e32 v2, v2, v46
	v_fmamk_f32 v6, v18, 0xbf5db3d7, v4
	v_fmamk_f32 v7, v19, 0x3f5db3d7, v5
	v_fmac_f32_e32 v4, 0x3f5db3d7, v18
	v_fmac_f32_e32 v5, 0xbf5db3d7, v19
	s_waitcnt vmcnt(0)
	ds_write2_b64 v20, v[2:3], v[6:7] offset0:2 offset1:245
	v_add_f32_e32 v2, v42, v44
	v_add_f32_e32 v6, v8, v42
	buffer_load_dword v42, off, s[20:23], 0 offset:592 ; 4-byte Folded Reload
	v_add_f32_e32 v7, v43, v45
	v_sub_f32_e32 v20, v43, v45
	v_fma_f32 v8, -0.5, v2, v8
	v_add_f32_e32 v2, v9, v43
	v_fmac_f32_e32 v9, -0.5, v7
	v_add_f32_e32 v3, v2, v45
	v_add_f32_e32 v2, v6, v44
	v_fmamk_f32 v6, v20, 0xbf5db3d7, v8
	v_fmamk_f32 v7, v21, 0x3f5db3d7, v9
	v_fmac_f32_e32 v8, 0x3f5db3d7, v20
	v_fmac_f32_e32 v9, 0xbf5db3d7, v21
	v_sub_f32_e32 v20, v41, v39
	v_sub_f32_e32 v21, v40, v38
	s_waitcnt vmcnt(0)
	ds_write2_b64 v42, v[2:3], v[6:7] offset0:11 offset1:254
	buffer_load_dword v2, off, s[20:23], 0 offset:588 ; 4-byte Folded Reload
	v_add_f32_e32 v6, v40, v38
	v_add_f32_e32 v7, v41, v39
	v_fma_f32 v6, -0.5, v6, v10
	v_fma_f32 v7, -0.5, v7, v11
	s_waitcnt vmcnt(0)
	ds_write_b64 v2, v[8:9] offset:21384
	v_add_f32_e32 v2, v11, v41
	v_fmamk_f32 v8, v20, 0xbf5db3d7, v6
	v_fmamk_f32 v9, v21, 0x3f5db3d7, v7
	v_sub_f32_e32 v11, v34, v36
	v_fmac_f32_e32 v6, 0x3f5db3d7, v20
	v_add_f32_e32 v3, v2, v39
	v_add_f32_e32 v2, v10, v40
	buffer_load_dword v10, off, s[20:23], 0 offset:596 ; 4-byte Folded Reload
	v_fmac_f32_e32 v7, 0xbf5db3d7, v21
	v_add_f32_e32 v2, v2, v38
	s_waitcnt vmcnt(0)
	ds_write2_b64 v10, v[2:3], v[8:9] offset0:4 offset1:247
	v_add_f32_e32 v2, v34, v36
	v_add_f32_e32 v8, v12, v34
	buffer_load_dword v34, off, s[20:23], 0 offset:604 ; 4-byte Folded Reload
	v_add_f32_e32 v9, v35, v37
	v_sub_f32_e32 v10, v35, v37
	v_fma_f32 v12, -0.5, v2, v12
	v_add_f32_e32 v2, v13, v35
	v_fmac_f32_e32 v13, -0.5, v9
	v_add_f32_e32 v3, v2, v37
	v_add_f32_e32 v2, v8, v36
	v_fmamk_f32 v8, v10, 0xbf5db3d7, v12
	v_fmamk_f32 v9, v11, 0x3f5db3d7, v13
	v_fmac_f32_e32 v12, 0x3f5db3d7, v10
	v_fmac_f32_e32 v13, 0xbf5db3d7, v11
	s_waitcnt vmcnt(0)
	ds_write2_b64 v34, v[2:3], v[8:9] offset0:5 offset1:248
	buffer_load_dword v2, off, s[20:23], 0 offset:600 ; 4-byte Folded Reload
	v_add_f32_e32 v8, v32, v30
	v_add_f32_e32 v9, v33, v31
	v_fma_f32 v8, -0.5, v8, v14
	v_fma_f32 v9, -0.5, v9, v15
	s_waitcnt vmcnt(0)
	ds_write_b64 v2, v[12:13] offset:33048
	v_add_f32_e32 v2, v15, v33
	v_sub_f32_e32 v12, v33, v31
	v_sub_f32_e32 v13, v32, v30
	;; [unrolled: 1-line block ×3, first 2 shown]
	v_add_f32_e32 v3, v2, v31
	v_add_f32_e32 v2, v14, v32
	buffer_load_dword v14, off, s[20:23], 0 offset:608 ; 4-byte Folded Reload
	v_fmamk_f32 v10, v12, 0xbf5db3d7, v8
	v_fmamk_f32 v11, v13, 0x3f5db3d7, v9
	v_fmac_f32_e32 v8, 0x3f5db3d7, v12
	v_add_f32_e32 v2, v2, v30
	v_fmac_f32_e32 v9, 0xbf5db3d7, v13
	s_waitcnt vmcnt(0)
	ds_write2_b64 v14, v[2:3], v[10:11] offset0:6 offset1:249
	v_add_f32_e32 v2, v26, v28
	v_add_f32_e32 v10, v16, v26
	buffer_load_dword v26, off, s[20:23], 0 offset:616 ; 4-byte Folded Reload
	v_add_f32_e32 v11, v27, v29
	v_sub_f32_e32 v14, v27, v29
	v_fma_f32 v16, -0.5, v2, v16
	v_add_f32_e32 v2, v17, v27
	v_fmac_f32_e32 v17, -0.5, v11
	v_add_f32_e32 v3, v2, v29
	v_add_f32_e32 v2, v10, v28
	v_fmamk_f32 v10, v14, 0xbf5db3d7, v16
	v_fmamk_f32 v11, v15, 0x3f5db3d7, v17
	v_fmac_f32_e32 v16, 0x3f5db3d7, v14
	v_fmac_f32_e32 v17, 0xbf5db3d7, v15
	v_sub_f32_e32 v14, v25, v23
	v_sub_f32_e32 v15, v24, v22
	s_waitcnt vmcnt(0)
	ds_write2_b64 v26, v[2:3], v[10:11] offset0:7 offset1:250
	buffer_load_dword v2, off, s[20:23], 0 offset:612 ; 4-byte Folded Reload
	v_add_f32_e32 v10, v0, v24
	v_add_f32_e32 v3, v1, v25
	;; [unrolled: 1-line block ×3, first 2 shown]
	s_waitcnt vmcnt(0)
	ds_write_b64 v2, v[16:17] offset:44712
	buffer_load_dword v16, off, s[20:23], 0 offset:636 ; 4-byte Folded Reload
	v_add_f32_e32 v2, v24, v22
	v_fma_f32 v0, -0.5, v2, v0
	v_add_f32_e32 v2, v25, v23
	v_fmac_f32_e32 v1, -0.5, v2
	v_add_f32_e32 v2, v10, v22
	v_fmamk_f32 v10, v14, 0xbf5db3d7, v0
	v_fmac_f32_e32 v0, 0x3f5db3d7, v14
	v_fmamk_f32 v11, v15, 0x3f5db3d7, v1
	v_fmac_f32_e32 v1, 0xbf5db3d7, v15
	s_waitcnt vmcnt(0)
	ds_write2_b64 v16, v[2:3], v[10:11] offset0:8 offset1:251
	buffer_load_dword v2, off, s[20:23], 0 offset:632 ; 4-byte Folded Reload
	s_waitcnt vmcnt(0)
	ds_write_b64 v2, v[0:1] offset:50544
	buffer_load_dword v0, off, s[20:23], 0 offset:620 ; 4-byte Folded Reload
	s_waitcnt vmcnt(0)
	ds_write_b64 v0, v[4:5] offset:15552
	;; [unrolled: 3-line block ×4, first 2 shown]
	s_waitcnt lgkmcnt(0)
	s_barrier
	buffer_gl0_inv
	ds_read2_b64 v[0:3], v90 offset0:6 offset1:249
	ds_read2_b64 v[5:8], v72 offset0:2 offset1:245
	s_waitcnt lgkmcnt(1)
	v_mul_f32_e32 v9, v147, v1
	v_mul_f32_e32 v23, v151, v3
	s_waitcnt lgkmcnt(0)
	v_mul_f32_e32 v44, v159, v8
	v_mul_f32_e32 v46, v151, v6
	v_fmac_f32_e32 v9, v146, v0
	v_mul_f32_e32 v0, v147, v0
	v_fmac_f32_e32 v23, v150, v2
	v_fmac_f32_e32 v44, v158, v7
	;; [unrolled: 1-line block ×3, first 2 shown]
	v_fma_f32 v10, v146, v1, -v0
	v_mul_f32_e32 v0, v151, v2
	v_fma_f32 v24, v150, v3, -v0
	ds_read2_b64 v[0:3], v254 offset0:6 offset1:249
	s_waitcnt lgkmcnt(0)
	v_mul_f32_e32 v25, v149, v1
	v_mul_f32_e32 v27, v157, v3
	v_fmac_f32_e32 v25, v148, v0
	v_mul_f32_e32 v0, v149, v0
	v_fmac_f32_e32 v27, v156, v2
	v_fma_f32 v26, v148, v1, -v0
	v_mul_f32_e32 v0, v157, v2
	ds_read_b64 v[1:2], v75 offset:50544
	v_fma_f32 v28, v156, v3, -v0
	s_waitcnt lgkmcnt(0)
	v_mul_f32_e32 v0, v223, v2
	v_fmac_f32_e32 v0, v222, v1
	v_mul_f32_e32 v1, v223, v1
	v_fma_f32 v29, v222, v2, -v1
	ds_read2_b64 v[1:4], v58 offset1:243
	s_waitcnt lgkmcnt(0)
	v_mul_f32_e32 v30, v221, v4
	v_mul_f32_e32 v32, v217, v2
	v_fmac_f32_e32 v30, v220, v3
	v_mul_f32_e32 v3, v221, v3
	v_fmac_f32_e32 v32, v216, v1
	v_mul_f32_e32 v1, v217, v1
	v_fma_f32 v31, v220, v4, -v3
	v_fma_f32 v33, v216, v2, -v1
	ds_read2_b64 v[1:4], v66 offset0:8 offset1:251
	s_waitcnt lgkmcnt(0)
	v_mul_f32_e32 v34, v219, v4
	v_mul_f32_e32 v36, v207, v2
	v_fmac_f32_e32 v34, v218, v3
	v_mul_f32_e32 v3, v219, v3
	v_fmac_f32_e32 v36, v206, v1
	v_mul_f32_e32 v1, v207, v1
	v_fma_f32 v35, v218, v4, -v3
	v_fma_f32 v37, v206, v2, -v1
	ds_read2_b64 v[1:4], v89 offset0:10 offset1:253
	;; [unrolled: 10-line block ×3, first 2 shown]
	s_waitcnt lgkmcnt(0)
	v_mul_f32_e32 v42, v159, v2
	v_mul_f32_e32 v52, v147, v4
	v_fmac_f32_e32 v42, v158, v1
	v_mul_f32_e32 v1, v159, v1
	v_fmac_f32_e32 v52, v146, v3
	v_fma_f32 v43, v158, v2, -v1
	v_mul_f32_e32 v1, v159, v7
	v_fma_f32 v45, v158, v8, -v1
	v_mul_f32_e32 v1, v151, v5
	v_fma_f32 v47, v150, v6, -v1
	ds_read2_b64 v[5:8], v67 offset0:4 offset1:247
	s_waitcnt lgkmcnt(0)
	v_mul_f32_e32 v1, v149, v7
	v_mul_f32_e32 v48, v149, v8
	;; [unrolled: 1-line block ×3, first 2 shown]
	v_fma_f32 v49, v148, v8, -v1
	v_mul_f32_e32 v1, v145, v5
	v_fmac_f32_e32 v48, v148, v7
	v_fmac_f32_e32 v50, v144, v5
	v_fma_f32 v51, v144, v6, -v1
	v_mul_f32_e32 v1, v147, v3
	v_fma_f32 v53, v146, v4, -v1
	ds_read2_b64 v[1:4], v255 offset0:8 offset1:251
	s_waitcnt lgkmcnt(0)
	v_mul_f32_e32 v7, v145, v4
	v_fmac_f32_e32 v7, v144, v3
	v_mul_f32_e32 v3, v145, v3
	v_sub_f32_e32 v55, v7, v9
	v_fma_f32 v8, v144, v4, -v3
	ds_read2_b64 v[3:6], v75 offset1:243
	v_add_f32_e32 v12, v8, v10
	v_sub_f32_e32 v54, v8, v10
	s_waitcnt lgkmcnt(0)
	v_add_f32_e32 v11, v4, v8
	v_add_f32_e32 v8, v3, v7
	v_fma_f32 v4, -0.5, v12, v4
	v_add_f32_e32 v20, v11, v10
	v_add_f32_e32 v19, v8, v9
	;; [unrolled: 1-line block ×3, first 2 shown]
	v_fmamk_f32 v22, v55, 0x3f5db3d7, v4
	v_fmac_f32_e32 v4, 0xbf5db3d7, v55
	v_fma_f32 v3, -0.5, v8, v3
	ds_read2_b64 v[7:10], v253 offset0:6 offset1:249
	ds_read2_b64 v[11:14], v74 offset0:12 offset1:255
	;; [unrolled: 1-line block ×3, first 2 shown]
	s_waitcnt lgkmcnt(0)
	s_barrier
	buffer_gl0_inv
	v_fmamk_f32 v21, v54, 0xbf5db3d7, v3
	v_fmac_f32_e32 v3, 0x3f5db3d7, v54
	ds_write_b64 v75, v[21:22] offset:5832
	ds_write_b64 v75, v[3:4] offset:11664
	v_add_f32_e32 v3, v5, v25
	v_add_f32_e32 v4, v6, v26
	;; [unrolled: 1-line block ×6, first 2 shown]
	ds_write2_b64 v75, v[19:20], v[3:4] offset1:243
	v_add_f32_e32 v3, v25, v23
	v_sub_f32_e32 v4, v26, v24
	v_sub_f32_e32 v19, v25, v23
	;; [unrolled: 1-line block ×3, first 2 shown]
	v_add_f32_e32 v23, v13, v40
	v_fma_f32 v5, -0.5, v3, v5
	v_add_f32_e32 v3, v26, v24
	v_add_f32_e32 v24, v14, v41
	v_sub_f32_e32 v25, v41, v45
	v_sub_f32_e32 v26, v40, v44
	v_fmac_f32_e32 v6, -0.5, v3
	v_fmamk_f32 v3, v4, 0xbf5db3d7, v5
	v_fmac_f32_e32 v5, 0x3f5db3d7, v4
	v_fmamk_f32 v4, v19, 0x3f5db3d7, v6
	v_fmac_f32_e32 v6, 0xbf5db3d7, v19
	v_sub_f32_e32 v19, v28, v43
	ds_write_b64 v75, v[5:6] offset:13608
	v_add_f32_e32 v5, v7, v27
	v_add_f32_e32 v6, v8, v28
	;; [unrolled: 1-line block ×4, first 2 shown]
	ds_write_b64 v75, v[5:6] offset:3888
	v_add_f32_e32 v6, v28, v43
	v_add_f32_e32 v5, v27, v42
	v_sub_f32_e32 v27, v48, v46
	v_fma_f32 v6, -0.5, v6, v8
	v_fma_f32 v5, -0.5, v5, v7
	v_fmamk_f32 v8, v20, 0x3f5db3d7, v6
	v_fmamk_f32 v7, v19, 0xbf5db3d7, v5
	v_fmac_f32_e32 v5, 0x3f5db3d7, v19
	v_fmac_f32_e32 v6, 0xbf5db3d7, v20
	ds_write2_b64 v74, v[3:4], v[7:8] offset0:12 offset1:255
	v_add_f32_e32 v3, v50, v52
	v_sub_f32_e32 v4, v51, v53
	v_sub_f32_e32 v7, v50, v52
	v_fma_f32 v9, -0.5, v3, v9
	v_add_f32_e32 v3, v51, v53
	v_fmac_f32_e32 v10, -0.5, v3
	v_fmamk_f32 v3, v4, 0xbf5db3d7, v9
	v_fmac_f32_e32 v9, 0x3f5db3d7, v4
	v_fmamk_f32 v4, v7, 0x3f5db3d7, v10
	v_fmac_f32_e32 v10, 0xbf5db3d7, v7
	v_add_f32_e32 v7, v40, v44
	v_fma_f32 v13, -0.5, v7, v13
	v_add_f32_e32 v7, v41, v45
	v_fmac_f32_e32 v14, -0.5, v7
	v_fmamk_f32 v7, v25, 0xbf5db3d7, v13
	v_fmac_f32_e32 v13, 0x3f5db3d7, v25
	v_fmamk_f32 v8, v26, 0x3f5db3d7, v14
	v_fmac_f32_e32 v14, 0xbf5db3d7, v26
	ds_write2_b64 v89, v[7:8], v[9:10] offset0:10 offset1:253
	v_add_f32_e32 v7, v48, v46
	v_add_f32_e32 v8, v49, v47
	v_sub_f32_e32 v10, v49, v47
	v_fma_f32 v7, -0.5, v7, v11
	v_fma_f32 v8, -0.5, v8, v12
	v_add_f32_e32 v11, v11, v48
	v_add_f32_e32 v12, v12, v49
	v_fmamk_f32 v9, v10, 0xbf5db3d7, v7
	v_fmac_f32_e32 v7, 0x3f5db3d7, v10
	v_fmamk_f32 v10, v27, 0x3f5db3d7, v8
	v_fmac_f32_e32 v8, 0xbf5db3d7, v27
	ds_write2_b64 v58, v[7:8], v[13:14] offset1:243
	v_add_f32_e32 v7, v21, v52
	v_add_f32_e32 v8, v22, v53
	ds_write2_b64 v255, v[5:6], v[7:8] offset0:8 offset1:251
	ds_write2_b64 v67, v[3:4], v[9:10] offset0:4 offset1:247
	buffer_load_dword v19, off, s[20:23], 0 offset:648 ; 4-byte Folded Reload
	v_add_f32_e32 v3, v11, v46
	v_add_f32_e32 v4, v12, v47
	;; [unrolled: 1-line block ×4, first 2 shown]
	v_sub_f32_e32 v7, v38, v36
	v_add_f32_e32 v12, v16, v39
	v_add_f32_e32 v9, v17, v32
	;; [unrolled: 1-line block ×3, first 2 shown]
	ds_write2_b64 v254, v[3:4], v[5:6] offset0:6 offset1:249
	v_add_f32_e32 v3, v38, v36
	v_add_f32_e32 v4, v39, v37
	v_sub_f32_e32 v6, v39, v37
	v_add_f32_e32 v13, v1, v30
	v_add_f32_e32 v11, v15, v38
	v_fma_f32 v3, -0.5, v3, v15
	v_fma_f32 v4, -0.5, v4, v16
	buffer_load_dword v16, off, s[20:23], 0 offset:644 ; 4-byte Folded Reload
	v_add_f32_e32 v14, v2, v31
	v_sub_f32_e32 v8, v31, v29
	v_fmamk_f32 v5, v6, 0xbf5db3d7, v3
	v_fmac_f32_e32 v3, 0x3f5db3d7, v6
	v_fmamk_f32 v6, v7, 0x3f5db3d7, v4
	v_fmac_f32_e32 v4, 0xbf5db3d7, v7
	v_sub_f32_e32 v7, v32, v34
	v_sub_f32_e32 v15, v30, v0
	s_waitcnt vmcnt(1)
	ds_write_b64 v19, v[3:4] offset:46656
	v_add_f32_e32 v3, v32, v34
	v_sub_f32_e32 v4, v33, v35
	v_fma_f32 v17, -0.5, v3, v17
	v_add_f32_e32 v3, v33, v35
	v_fmac_f32_e32 v18, -0.5, v3
	v_fmamk_f32 v3, v4, 0xbf5db3d7, v17
	v_fmac_f32_e32 v17, 0x3f5db3d7, v4
	v_fmamk_f32 v4, v7, 0x3f5db3d7, v18
	v_fmac_f32_e32 v18, 0xbf5db3d7, v7
	v_add_f32_e32 v7, v30, v0
	v_add_f32_e32 v0, v13, v0
	v_fma_f32 v1, -0.5, v7, v1
	v_add_f32_e32 v7, v31, v29
	v_fmac_f32_e32 v2, -0.5, v7
	v_fmamk_f32 v7, v8, 0xbf5db3d7, v1
	v_fmac_f32_e32 v1, 0x3f5db3d7, v8
	v_fmamk_f32 v8, v15, 0x3f5db3d7, v2
	v_fmac_f32_e32 v2, 0xbf5db3d7, v15
	buffer_load_dword v15, off, s[20:23], 0 offset:640 ; 4-byte Folded Reload
	s_waitcnt vmcnt(1)
	ds_write_b64 v16, v[17:18] offset:46656
	s_waitcnt vmcnt(0)
	ds_write_b64 v15, v[1:2] offset:46656
	v_add_f32_e32 v1, v11, v36
	v_add_f32_e32 v2, v12, v37
	ds_write_b64 v19, v[1:2] offset:34992
	ds_write_b64 v19, v[5:6] offset:40824
	v_add_f32_e32 v1, v9, v34
	v_add_f32_e32 v2, v10, v35
	ds_write_b64 v16, v[1:2] offset:34992
	ds_write_b64 v16, v[3:4] offset:40824
	v_add_f32_e32 v1, v14, v29
	ds_write_b64 v15, v[0:1] offset:34992
	ds_write_b64 v15, v[7:8] offset:40824
	s_waitcnt lgkmcnt(0)
	s_barrier
	buffer_gl0_inv
	ds_read2_b64 v[0:3], v255 offset0:8 offset1:251
	ds_read2_b64 v[10:13], v75 offset1:243
	s_waitcnt lgkmcnt(1)
	v_mul_f32_e32 v14, v197, v3
	v_fmac_f32_e32 v14, v196, v2
	v_mul_f32_e32 v2, v197, v2
	v_fma_f32 v15, v196, v3, -v2
	ds_read2_b64 v[2:5], v90 offset0:6 offset1:249
	s_waitcnt lgkmcnt(0)
	v_mul_f32_e32 v16, v199, v3
	v_mul_f32_e32 v48, v195, v5
	v_fmac_f32_e32 v16, v198, v2
	v_mul_f32_e32 v2, v199, v2
	v_fmac_f32_e32 v48, v194, v4
	v_fma_f32 v17, v198, v3, -v2
	v_mul_f32_e32 v2, v195, v4
	v_add_f32_e32 v18, v15, v17
	v_fma_f32 v49, v194, v5, -v2
	ds_read2_b64 v[3:6], v254 offset0:6 offset1:249
	v_sub_f32_e32 v19, v15, v17
	s_waitcnt lgkmcnt(0)
	v_mul_f32_e32 v2, v193, v3
	v_mul_f32_e32 v50, v193, v4
	v_fma_f32 v51, v192, v4, -v2
	v_mul_f32_e32 v4, v189, v6
	v_mul_f32_e32 v2, v189, v5
	v_fmac_f32_e32 v50, v192, v3
	v_fmac_f32_e32 v4, v188, v5
	v_fma_f32 v5, v188, v6, -v2
	ds_read2_b64 v[6:9], v64 offset0:12 offset1:255
	s_waitcnt lgkmcnt(0)
	v_mul_f32_e32 v2, v191, v7
	v_mul_f32_e32 v3, v191, v6
	v_fmac_f32_e32 v2, v190, v6
	v_add_f32_e32 v6, v11, v15
	v_fma_f32 v3, v190, v7, -v3
	v_add_f32_e32 v15, v14, v16
	v_fma_f32 v11, -0.5, v18, v11
	v_add_f32_e32 v7, v6, v17
	v_add_f32_e32 v6, v10, v14
	v_fma_f32 v10, -0.5, v15, v10
	v_add_f32_e32 v6, v6, v16
	v_sub_f32_e32 v16, v14, v16
	v_fmamk_f32 v14, v19, 0xbf5db3d7, v10
	v_fmac_f32_e32 v10, 0x3f5db3d7, v19
	v_fmamk_f32 v15, v16, 0x3f5db3d7, v11
	v_fmac_f32_e32 v11, 0xbf5db3d7, v16
	ds_write_b64 v75, v[14:15] offset:17496
	ds_write_b64 v75, v[10:11] offset:34992
	v_add_f32_e32 v10, v12, v50
	v_add_f32_e32 v11, v13, v51
	ds_read_b64 v[46:47], v75 offset:50544
	ds_read2_b64 v[14:17], v253 offset0:6 offset1:249
	ds_read2_b64 v[18:21], v67 offset0:4 offset1:247
	ds_read2_b64 v[22:25], v74 offset0:12 offset1:255
	ds_read2_b64 v[26:29], v72 offset0:2 offset1:245
	ds_read2_b64 v[30:33], v89 offset0:10 offset1:253
	ds_read2_b64 v[34:37], v63 offset0:2 offset1:245
	ds_read2_b64 v[38:41], v66 offset0:8 offset1:251
	ds_read2_b64 v[42:45], v65 offset1:243
	v_add_f32_e32 v10, v10, v48
	v_add_f32_e32 v11, v11, v49
	ds_write2_b64 v75, v[6:7], v[10:11] offset1:243
	v_add_f32_e32 v6, v50, v48
	v_sub_f32_e32 v7, v51, v49
	v_sub_f32_e32 v10, v50, v48
	v_add_f32_e32 v11, v5, v3
	v_sub_f32_e32 v50, v4, v2
	v_fma_f32 v12, -0.5, v6, v12
	v_add_f32_e32 v6, v51, v49
	v_sub_f32_e32 v49, v5, v3
	s_waitcnt lgkmcnt(8)
	v_fma_f32 v11, -0.5, v11, v15
	s_waitcnt lgkmcnt(7)
	v_mul_f32_e32 v52, v209, v21
	v_fmac_f32_e32 v13, -0.5, v6
	v_fmamk_f32 v6, v7, 0xbf5db3d7, v12
	v_fmac_f32_e32 v12, 0x3f5db3d7, v7
	v_fmac_f32_e32 v52, v208, v20
	v_fmamk_f32 v7, v10, 0x3f5db3d7, v13
	v_fmac_f32_e32 v13, 0xbf5db3d7, v10
	v_add_f32_e32 v10, v4, v2
	v_fma_f32 v10, -0.5, v10, v14
	v_fmamk_f32 v48, v49, 0xbf5db3d7, v10
	v_fmac_f32_e32 v10, 0x3f5db3d7, v49
	v_fmamk_f32 v49, v50, 0x3f5db3d7, v11
	v_fmac_f32_e32 v11, 0xbf5db3d7, v50
	v_add_nc_u32_e32 v50, 0x9000, v75
	ds_write2_b64 v254, v[6:7], v[48:49] offset0:6 offset1:249
	ds_write2_b64 v50, v[12:13], v[10:11] offset0:9 offset1:252
	v_mul_f32_e32 v50, v203, v9
	v_mul_f32_e32 v12, v201, v19
	s_waitcnt lgkmcnt(3)
	v_mul_f32_e32 v11, v233, v45
	v_mul_f32_e32 v10, v233, v44
	v_fmac_f32_e32 v50, v202, v8
	v_mul_f32_e32 v8, v203, v8
	v_fmac_f32_e32 v12, v200, v18
	v_fmac_f32_e32 v11, v232, v44
	v_fma_f32 v10, v232, v45, -v10
	v_fma_f32 v51, v202, v9, -v8
	v_mul_f32_e32 v8, v201, v18
	v_mul_f32_e32 v9, v229, v43
	v_mul_f32_e32 v18, v235, v46
	v_add_f32_e32 v45, v0, v11
	v_fma_f32 v13, v200, v19, -v8
	v_mul_f32_e32 v8, v209, v20
	v_fmac_f32_e32 v9, v228, v42
	v_fma_f32 v20, v208, v21, -v8
	v_mul_f32_e32 v21, v211, v27
	v_mul_f32_e32 v8, v211, v26
	v_fmac_f32_e32 v21, v210, v26
	v_fma_f32 v26, v210, v27, -v8
	v_mul_f32_e32 v27, v215, v29
	v_mul_f32_e32 v8, v215, v28
	v_sub_f32_e32 v19, v20, v26
	v_fmac_f32_e32 v27, v214, v28
	v_fma_f32 v28, v214, v29, -v8
	v_mul_f32_e32 v29, v213, v31
	v_mul_f32_e32 v8, v213, v30
	v_fmac_f32_e32 v29, v212, v30
	v_fma_f32 v30, v212, v31, -v8
	v_mul_f32_e32 v31, v225, v33
	v_mul_f32_e32 v8, v225, v32
	v_add_f32_e32 v53, v25, v30
	v_fmac_f32_e32 v31, v224, v32
	v_fma_f32 v32, v224, v33, -v8
	v_mul_f32_e32 v33, v227, v39
	v_mul_f32_e32 v8, v227, v38
	v_fmac_f32_e32 v33, v226, v38
	v_fma_f32 v38, v226, v39, -v8
	v_mul_f32_e32 v39, v231, v41
	v_mul_f32_e32 v8, v231, v40
	v_fmac_f32_e32 v39, v230, v40
	v_fma_f32 v40, v230, v41, -v8
	v_mul_f32_e32 v8, v229, v42
	v_fma_f32 v42, v234, v47, -v18
	v_mul_f32_e32 v41, v235, v47
	v_add_f32_e32 v18, v9, v39
	v_sub_f32_e32 v47, v52, v21
	v_fma_f32 v8, v228, v43, -v8
	v_add_f32_e32 v43, v36, v9
	v_fmac_f32_e32 v41, v234, v46
	v_fma_f32 v36, -0.5, v18, v36
	v_add_f32_e32 v46, v1, v10
	v_add_f32_e32 v18, v8, v40
	;; [unrolled: 1-line block ×3, first 2 shown]
	v_fmac_f32_e32 v37, -0.5, v18
	v_sub_f32_e32 v18, v8, v40
	v_fmamk_f32 v8, v18, 0xbf5db3d7, v36
	v_fmac_f32_e32 v36, 0x3f5db3d7, v18
	v_sub_f32_e32 v18, v9, v39
	v_fmamk_f32 v9, v18, 0x3f5db3d7, v37
	v_fmac_f32_e32 v37, 0xbf5db3d7, v18
	v_add_f32_e32 v18, v11, v41
	v_fma_f32 v0, -0.5, v18, v0
	v_add_f32_e32 v18, v10, v42
	v_fmac_f32_e32 v1, -0.5, v18
	v_sub_f32_e32 v18, v10, v42
	v_fmamk_f32 v10, v18, 0xbf5db3d7, v0
	v_fmac_f32_e32 v0, 0x3f5db3d7, v18
	v_sub_f32_e32 v18, v11, v41
	v_fmamk_f32 v11, v18, 0x3f5db3d7, v1
	v_fmac_f32_e32 v1, 0xbf5db3d7, v18
	v_add_nc_u32_e32 v18, 0xbd80, v75
	ds_write2_b64 v18, v[36:37], v[0:1] offset0:11 offset1:254
	v_add_f32_e32 v0, v12, v50
	v_add_f32_e32 v36, v16, v12
	;; [unrolled: 1-line block ×3, first 2 shown]
	v_sub_f32_e32 v1, v13, v51
	v_sub_f32_e32 v12, v12, v50
	v_fma_f32 v16, -0.5, v0, v16
	v_add_f32_e32 v0, v13, v51
	v_add_f32_e32 v13, v20, v26
	;; [unrolled: 1-line block ×4, first 2 shown]
	v_fmac_f32_e32 v17, -0.5, v0
	v_fmamk_f32 v0, v1, 0xbf5db3d7, v16
	v_fmac_f32_e32 v16, 0x3f5db3d7, v1
	v_fma_f32 v13, -0.5, v13, v23
	v_fmamk_f32 v1, v12, 0x3f5db3d7, v17
	v_fmac_f32_e32 v17, 0xbf5db3d7, v12
	v_add_f32_e32 v12, v52, v21
	v_fma_f32 v12, -0.5, v12, v22
	v_fmamk_f32 v18, v19, 0xbf5db3d7, v12
	v_fmac_f32_e32 v12, 0x3f5db3d7, v19
	v_fmamk_f32 v19, v47, 0x3f5db3d7, v13
	v_fmac_f32_e32 v13, 0xbf5db3d7, v47
	v_add_nc_u32_e32 v47, 0x9f40, v75
	ds_write2_b64 v47, v[16:17], v[12:13] offset0:7 offset1:250
	v_add_f32_e32 v16, v14, v4
	v_add_f32_e32 v4, v29, v27
	;; [unrolled: 1-line block ×4, first 2 shown]
	v_sub_f32_e32 v5, v30, v28
	v_sub_f32_e32 v12, v29, v27
	v_fma_f32 v24, -0.5, v4, v24
	v_add_f32_e32 v4, v30, v28
	v_add_f32_e32 v13, v32, v38
	v_sub_f32_e32 v15, v32, v38
	v_sub_f32_e32 v29, v31, v33
	v_add_f32_e32 v2, v16, v2
	v_fmac_f32_e32 v25, -0.5, v4
	v_fmamk_f32 v4, v5, 0xbf5db3d7, v24
	v_fmac_f32_e32 v24, 0x3f5db3d7, v5
	v_fma_f32 v13, -0.5, v13, v35
	v_add_f32_e32 v3, v17, v3
	v_fmamk_f32 v5, v12, 0x3f5db3d7, v25
	v_fmac_f32_e32 v25, 0xbf5db3d7, v12
	v_add_f32_e32 v12, v31, v33
	v_fma_f32 v12, -0.5, v12, v34
	v_fmamk_f32 v14, v15, 0xbf5db3d7, v12
	v_fmac_f32_e32 v12, 0x3f5db3d7, v15
	v_fmamk_f32 v15, v29, 0x3f5db3d7, v13
	v_fmac_f32_e32 v13, 0xbf5db3d7, v29
	v_add_nc_u32_e32 v29, 0xae80, v75
	ds_write2_b64 v29, v[24:25], v[12:13] offset0:5 offset1:248
	v_add_f32_e32 v12, v22, v52
	v_add_f32_e32 v13, v23, v20
	v_add_f32_e32 v20, v34, v31
	v_add_f32_e32 v22, v35, v32
	ds_write2_b64 v253, v[2:3], v[6:7] offset0:6 offset1:249
	ds_write2_b64 v67, v[0:1], v[18:19] offset0:4 offset1:247
	v_add_f32_e32 v0, v12, v21
	v_add_f32_e32 v1, v13, v26
	v_add_f32_e32 v2, v47, v27
	v_add_f32_e32 v3, v53, v28
	ds_write2_b64 v74, v[0:1], v[2:3] offset0:12 offset1:255
	;; [unrolled: 6-line block ×3, first 2 shown]
	ds_write2_b64 v65, v[8:9], v[10:11] offset1:243
	v_add_f32_e32 v0, v45, v41
	v_add_f32_e32 v1, v46, v42
	ds_write_b64 v75, v[0:1] offset:15552
	s_waitcnt lgkmcnt(0)
	s_barrier
	buffer_gl0_inv
	ds_read2_b64 v[0:3], v75 offset1:243
	s_clause 0x3
	buffer_load_dword v4, off, s[20:23], 0 offset:208
	buffer_load_dword v5, off, s[20:23], 0 offset:212
	;; [unrolled: 1-line block ×4, first 2 shown]
	s_waitcnt vmcnt(2) lgkmcnt(0)
	v_mul_f32_e32 v7, v5, v1
	v_fmac_f32_e32 v7, v4, v0
	v_mul_f32_e32 v0, v5, v0
	s_waitcnt vmcnt(0)
	v_mul_f32_e32 v5, v9, v3
	v_fma_f32 v6, v4, v1, -v0
	v_mul_f32_e32 v0, v9, v2
	v_fmac_f32_e32 v5, v8, v2
	v_fma_f32 v4, v8, v3, -v0
	ds_read2_b64 v[0:3], v90 offset0:6 offset1:249
	s_clause 0x1
	buffer_load_dword v8, off, s[20:23], 0 offset:176
	buffer_load_dword v9, off, s[20:23], 0 offset:180
	s_waitcnt vmcnt(0) lgkmcnt(0)
	v_mul_f32_e32 v12, v9, v1
	v_fmac_f32_e32 v12, v8, v0
	v_mul_f32_e32 v0, v9, v0
	v_fma_f32 v13, v8, v1, -v0
	s_clause 0x1
	buffer_load_dword v8, off, s[20:23], 0 offset:200
	buffer_load_dword v9, off, s[20:23], 0 offset:204
	s_waitcnt vmcnt(0)
	v_mul_f32_e32 v14, v9, v3
	v_mul_f32_e32 v0, v9, v2
	v_fmac_f32_e32 v14, v8, v2
	v_fma_f32 v16, v8, v3, -v0
	ds_read2_b64 v[0:3], v254 offset0:6 offset1:249
	s_clause 0x1
	buffer_load_dword v8, off, s[20:23], 0 offset:184
	buffer_load_dword v9, off, s[20:23], 0 offset:188
	s_waitcnt vmcnt(0) lgkmcnt(0)
	v_mul_f32_e32 v15, v9, v1
	v_fmac_f32_e32 v15, v8, v0
	v_mul_f32_e32 v0, v9, v0
	v_fma_f32 v17, v8, v1, -v0
	s_clause 0x1
	buffer_load_dword v8, off, s[20:23], 0 offset:192
	buffer_load_dword v9, off, s[20:23], 0 offset:196
	s_waitcnt vmcnt(0)
	v_mul_f32_e32 v18, v9, v3
	;; [unrolled: 17-line block ×4, first 2 shown]
	v_mul_f32_e32 v0, v9, v2
	v_fmac_f32_e32 v30, v8, v2
	v_fma_f32 v32, v8, v3, -v0
	s_clause 0x2
	buffer_load_dword v2, off, s[20:23], 0
	buffer_load_dword v3, off, s[20:23], 0 offset:4
	buffer_load_dword v8, off, s[20:23], 0 offset:224
	v_cvt_f64_f32_e32 v[30:31], v30
	s_waitcnt vmcnt(2)
	v_mad_u64_u32 v[0:1], null, s2, v2, 0
	v_mad_u64_u32 v[1:2], null, s3, v2, v[1:2]
	s_waitcnt vmcnt(0)
	v_mad_u64_u32 v[2:3], null, s0, v8, 0
	s_load_dwordx2 s[2:3], s[4:5], 0x38
	s_mul_i32 s4, s1, 0x4458
	s_mul_hi_u32 s5, s0, 0x4458
	v_lshlrev_b64 v[0:1], 3, v[0:1]
	s_add_i32 s4, s5, s4
	v_mad_u64_u32 v[8:9], null, s1, v8, v[3:4]
	s_mul_i32 s5, s0, 0x4458
	s_mul_i32 s1, s1, 0xffff7ee8
	;; [unrolled: 1-line block ×3, first 2 shown]
	s_add_i32 s1, s6, s1
	v_mov_b32_e32 v3, v8
	v_lshlrev_b64 v[2:3], 3, v[2:3]
	s_waitcnt lgkmcnt(0)
	v_add_co_u32 v0, vcc_lo, s2, v0
	v_add_co_ci_u32_e32 v1, vcc_lo, s3, v1, vcc_lo
	s_mov_b32 s2, 0xab547995
	v_add_co_u32 v8, vcc_lo, v0, v2
	v_add_co_ci_u32_e32 v9, vcc_lo, v1, v3, vcc_lo
	ds_read2_b64 v[0:3], v255 offset0:8 offset1:251
	s_clause 0x1
	buffer_load_dword v26, off, s[20:23], 0 offset:128
	buffer_load_dword v27, off, s[20:23], 0 offset:132
	s_mov_b32 s3, 0x3f23fa39
	s_waitcnt vmcnt(0) lgkmcnt(0)
	v_mul_f32_e32 v10, v27, v3
	v_fmac_f32_e32 v10, v26, v2
	v_mul_f32_e32 v2, v27, v2
	v_fma_f32 v11, v26, v3, -v2
	v_cvt_f64_f32_e32 v[2:3], v7
	v_cvt_f64_f32_e32 v[6:7], v6
	v_mul_f64 v[2:3], v[2:3], s[2:3]
	v_mul_f64 v[6:7], v[6:7], s[2:3]
	v_cvt_f32_f64_e32 v2, v[2:3]
	v_cvt_f32_f64_e32 v3, v[6:7]
	v_cvt_f64_f32_e32 v[6:7], v10
	v_cvt_f64_f32_e32 v[10:11], v11
	global_store_dwordx2 v[8:9], v[2:3], off
	v_mul_f64 v[6:7], v[6:7], s[2:3]
	v_mul_f64 v[10:11], v[10:11], s[2:3]
	v_add_co_u32 v2, vcc_lo, v8, s5
	v_add_co_ci_u32_e32 v3, vcc_lo, s4, v9, vcc_lo
	v_cvt_f64_f32_e32 v[8:9], v13
	v_cvt_f32_f64_e32 v6, v[6:7]
	v_cvt_f32_f64_e32 v7, v[10:11]
	v_cvt_f64_f32_e32 v[10:11], v12
	v_cvt_f64_f32_e32 v[12:13], v5
	;; [unrolled: 1-line block ×3, first 2 shown]
	v_mul_f64 v[8:9], v[8:9], s[2:3]
	global_store_dwordx2 v[2:3], v[6:7], off
	v_mul_f64 v[10:11], v[10:11], s[2:3]
	v_mul_f64 v[12:13], v[12:13], s[2:3]
	;; [unrolled: 1-line block ×3, first 2 shown]
	v_cvt_f64_f32_e32 v[6:7], v17
	v_add_co_u32 v2, vcc_lo, v2, s5
	v_add_co_ci_u32_e32 v3, vcc_lo, s4, v3, vcc_lo
	v_cvt_f32_f64_e32 v10, v[10:11]
	v_cvt_f32_f64_e32 v11, v[8:9]
	v_cvt_f64_f32_e32 v[8:9], v15
	v_cvt_f64_f32_e32 v[14:15], v14
	v_cvt_f32_f64_e32 v12, v[12:13]
	v_cvt_f32_f64_e32 v13, v[4:5]
	v_cvt_f64_f32_e32 v[4:5], v16
	v_mul_f64 v[6:7], v[6:7], s[2:3]
	v_cvt_f64_f32_e32 v[16:17], v19
	v_cvt_f64_f32_e32 v[18:19], v18
	global_store_dwordx2 v[2:3], v[10:11], off
	v_mul_f64 v[8:9], v[8:9], s[2:3]
	v_mul_f64 v[14:15], v[14:15], s[2:3]
	v_cvt_f64_f32_e32 v[10:11], v20
	v_mul_f64 v[4:5], v[4:5], s[2:3]
	v_mul_f64 v[16:17], v[16:17], s[2:3]
	;; [unrolled: 1-line block ×3, first 2 shown]
	v_cvt_f32_f64_e32 v8, v[8:9]
	v_cvt_f32_f64_e32 v9, v[6:7]
	;; [unrolled: 1-line block ×3, first 2 shown]
	v_cvt_f64_f32_e32 v[6:7], v21
	v_cvt_f32_f64_e32 v15, v[4:5]
	v_add_co_u32 v4, vcc_lo, v2, s0
	v_add_co_ci_u32_e32 v5, vcc_lo, s1, v3, vcc_lo
	v_cvt_f32_f64_e32 v16, v[16:17]
	v_add_co_u32 v20, vcc_lo, v4, s5
	v_add_co_ci_u32_e32 v21, vcc_lo, s4, v5, vcc_lo
	global_store_dwordx2 v[4:5], v[12:13], off
	ds_read2_b64 v[2:5], v67 offset0:4 offset1:247
	v_mul_f64 v[10:11], v[10:11], s[2:3]
	v_cvt_f64_f32_e32 v[12:13], v22
	v_cvt_f64_f32_e32 v[22:23], v23
	global_store_dwordx2 v[20:21], v[8:9], off
	s_clause 0x1
	buffer_load_dword v26, off, s[20:23], 0 offset:112
	buffer_load_dword v27, off, s[20:23], 0 offset:116
	v_mul_f64 v[6:7], v[6:7], s[2:3]
	v_add_co_u32 v8, vcc_lo, v20, s5
	v_add_co_ci_u32_e32 v9, vcc_lo, s4, v21, vcc_lo
	v_cvt_f64_f32_e32 v[20:21], v24
	v_cvt_f64_f32_e32 v[24:25], v25
	v_mul_f64 v[12:13], v[12:13], s[2:3]
	v_mul_f64 v[22:23], v[22:23], s[2:3]
	v_cvt_f32_f64_e32 v17, v[6:7]
	v_mul_f64 v[20:21], v[20:21], s[2:3]
	v_mul_f64 v[24:25], v[24:25], s[2:3]
	v_cvt_f32_f64_e32 v12, v[12:13]
	v_cvt_f32_f64_e32 v13, v[22:23]
	v_cvt_f32_f64_e32 v20, v[20:21]
	v_cvt_f32_f64_e32 v21, v[24:25]
	v_mul_f64 v[24:25], v[30:31], s[2:3]
	s_waitcnt vmcnt(0) lgkmcnt(0)
	v_mul_f32_e32 v6, v27, v3
	v_mul_f32_e32 v7, v27, v2
	v_fmac_f32_e32 v6, v26, v2
	v_fma_f32 v7, v26, v3, -v7
	s_clause 0x1
	buffer_load_dword v26, off, s[20:23], 0 offset:120
	buffer_load_dword v27, off, s[20:23], 0 offset:124
	global_store_dwordx2 v[8:9], v[14:15], off
	v_cvt_f64_f32_e32 v[28:29], v6
	v_cvt_f64_f32_e32 v[14:15], v7
	v_mul_f64 v[22:23], v[28:29], s[2:3]
	v_mul_f64 v[14:15], v[14:15], s[2:3]
	s_waitcnt vmcnt(0)
	v_mul_f32_e32 v33, v27, v5
	v_mul_f32_e32 v2, v27, v4
	v_fmac_f32_e32 v33, v26, v4
	v_fma_f32 v34, v26, v5, -v2
	v_add_co_u32 v26, vcc_lo, v8, s0
	v_add_co_ci_u32_e32 v27, vcc_lo, s1, v9, vcc_lo
	ds_read2_b64 v[2:5], v74 offset0:12 offset1:255
	ds_read2_b64 v[6:9], v72 offset0:2 offset1:245
	v_cvt_f64_f32_e32 v[30:31], v34
	global_store_dwordx2 v[26:27], v[16:17], off
	s_clause 0x1
	buffer_load_dword v35, off, s[20:23], 0 offset:136
	buffer_load_dword v36, off, s[20:23], 0 offset:140
	v_cvt_f32_f64_e32 v17, v[10:11]
	v_add_co_u32 v10, vcc_lo, v26, s5
	v_add_co_ci_u32_e32 v11, vcc_lo, s4, v27, vcc_lo
	v_cvt_f32_f64_e32 v16, v[18:19]
	v_add_co_u32 v18, vcc_lo, v10, s5
	v_add_co_ci_u32_e32 v19, vcc_lo, s4, v11, vcc_lo
	s_waitcnt vmcnt(0) lgkmcnt(1)
	v_mul_f32_e32 v26, v36, v3
	v_mul_f32_e32 v27, v36, v2
	s_clause 0x1
	buffer_load_dword v36, off, s[20:23], 0 offset:104
	buffer_load_dword v37, off, s[20:23], 0 offset:108
	global_store_dwordx2 v[10:11], v[16:17], off
	global_store_dwordx2 v[18:19], v[12:13], off
	v_fmac_f32_e32 v26, v35, v2
	v_mov_b32_e32 v2, v35
	v_cvt_f64_f32_e32 v[16:17], v33
	ds_read2_b64 v[10:13], v89 offset0:10 offset1:253
	v_fma_f32 v28, v2, v3, -v27
	v_cvt_f64_f32_e32 v[2:3], v32
	v_cvt_f64_f32_e32 v[26:27], v26
	;; [unrolled: 1-line block ×3, first 2 shown]
	v_mul_f64 v[16:17], v[16:17], s[2:3]
	v_mul_f64 v[2:3], v[2:3], s[2:3]
	v_cvt_f32_f64_e32 v16, v[16:17]
	s_waitcnt vmcnt(0) lgkmcnt(1)
	v_mul_f32_e32 v35, v37, v7
	v_fmac_f32_e32 v35, v36, v6
	v_mul_f32_e32 v6, v37, v6
	v_cvt_f64_f32_e32 v[32:33], v35
	v_fma_f32 v34, v36, v7, -v6
	v_add_co_u32 v6, vcc_lo, v18, s0
	v_add_co_ci_u32_e32 v7, vcc_lo, s1, v19, vcc_lo
	v_cvt_f64_f32_e32 v[18:19], v34
	global_store_dwordx2 v[6:7], v[20:21], off
	v_cvt_f32_f64_e32 v21, v[14:15]
	v_cvt_f32_f64_e32 v14, v[24:25]
	v_mul_f64 v[24:25], v[28:29], s[2:3]
	s_clause 0x3
	buffer_load_dword v28, off, s[20:23], 0 offset:80
	buffer_load_dword v29, off, s[20:23], 0 offset:84
	;; [unrolled: 1-line block ×4, first 2 shown]
	v_cvt_f32_f64_e32 v20, v[22:23]
	v_mul_f64 v[22:23], v[26:27], s[2:3]
	v_mul_f64 v[26:27], v[30:31], s[2:3]
	v_add_co_u32 v6, vcc_lo, v6, s5
	v_add_co_ci_u32_e32 v7, vcc_lo, s4, v7, vcc_lo
	v_mul_f64 v[18:19], v[18:19], s[2:3]
	v_cvt_f32_f64_e32 v22, v[22:23]
	v_cvt_f32_f64_e32 v17, v[26:27]
	;; [unrolled: 1-line block ×4, first 2 shown]
	s_waitcnt vmcnt(2)
	v_mul_f32_e32 v15, v29, v5
	v_mul_f32_e32 v30, v29, v4
	v_mov_b32_e32 v34, v28
	s_waitcnt vmcnt(0) lgkmcnt(0)
	v_mul_f32_e32 v31, v36, v10
	v_mul_f64 v[28:29], v[32:33], s[2:3]
	v_mul_f32_e32 v32, v36, v11
	v_add_co_u32 v36, vcc_lo, v6, s5
	v_fmac_f32_e32 v15, v34, v4
	v_fma_f32 v4, v34, v5, -v30
	v_fma_f32 v5, v35, v11, -v31
	v_fmac_f32_e32 v32, v35, v10
	v_add_co_ci_u32_e32 v37, vcc_lo, s4, v7, vcc_lo
	v_cvt_f64_f32_e32 v[10:11], v15
	v_cvt_f64_f32_e32 v[30:31], v4
	v_cvt_f32_f64_e32 v15, v[2:3]
	v_cvt_f64_f32_e32 v[34:35], v5
	ds_read2_b64 v[2:5], v63 offset0:2 offset1:245
	s_clause 0x1
	buffer_load_dword v39, off, s[20:23], 0 offset:72
	buffer_load_dword v40, off, s[20:23], 0 offset:76
	v_cvt_f64_f32_e32 v[32:33], v32
	v_add_co_u32 v24, vcc_lo, v36, s0
	v_add_co_ci_u32_e32 v25, vcc_lo, s1, v37, vcc_lo
	v_cvt_f32_f64_e32 v26, v[28:29]
	v_mul_f64 v[10:11], v[10:11], s[2:3]
	v_mul_f64 v[18:19], v[30:31], s[2:3]
	v_mul_f64 v[30:31], v[34:35], s[2:3]
	v_cvt_f32_f64_e32 v10, v[10:11]
	v_cvt_f32_f64_e32 v11, v[18:19]
	s_waitcnt vmcnt(0)
	v_mul_f32_e32 v38, v40, v9
	v_mul_f32_e32 v28, v40, v8
	v_fmac_f32_e32 v38, v39, v8
	v_fma_f32 v8, v39, v9, -v28
	s_clause 0x1
	buffer_load_dword v39, off, s[20:23], 0 offset:96
	buffer_load_dword v40, off, s[20:23], 0 offset:100
	v_mul_f64 v[28:29], v[32:33], s[2:3]
	global_store_dwordx2 v[6:7], v[20:21], off
	v_cvt_f64_f32_e32 v[32:33], v38
	v_cvt_f64_f32_e32 v[34:35], v8
	v_add_co_u32 v38, vcc_lo, v24, s5
	v_mul_f64 v[18:19], v[34:35], s[2:3]
	s_waitcnt vmcnt(0) lgkmcnt(0)
	v_mul_f32_e32 v9, v40, v3
	v_mov_b32_e32 v8, v39
	v_fmac_f32_e32 v9, v39, v2
	v_mul_f32_e32 v2, v40, v2
	v_add_co_ci_u32_e32 v39, vcc_lo, s4, v25, vcc_lo
	v_cvt_f64_f32_e32 v[40:41], v9
	v_fma_f32 v8, v8, v3, -v2
	v_add_co_u32 v2, vcc_lo, v38, s5
	v_add_co_ci_u32_e32 v3, vcc_lo, s4, v39, vcc_lo
	v_cvt_f64_f32_e32 v[42:43], v8
	ds_read2_b64 v[6:9], v66 offset0:8 offset1:251
	global_store_dwordx2 v[36:37], v[14:15], off
	global_store_dwordx2 v[24:25], v[22:23], off
	;; [unrolled: 1-line block ×4, first 2 shown]
	s_clause 0x1
	buffer_load_dword v22, off, s[20:23], 0 offset:24
	buffer_load_dword v23, off, s[20:23], 0 offset:28
	v_cvt_f32_f64_e32 v14, v[28:29]
	v_cvt_f32_f64_e32 v15, v[30:31]
	s_clause 0x1
	buffer_load_dword v29, off, s[20:23], 0 offset:56
	buffer_load_dword v30, off, s[20:23], 0 offset:60
	v_mul_f64 v[16:17], v[32:33], s[2:3]
	v_add_co_u32 v2, vcc_lo, v2, s0
	v_add_co_ci_u32_e32 v3, vcc_lo, s1, v3, vcc_lo
	global_store_dwordx2 v[2:3], v[10:11], off
	v_mul_f64 v[20:21], v[40:41], s[2:3]
	s_waitcnt vmcnt(2)
	v_mul_f32_e32 v24, v23, v13
	v_mov_b32_e32 v27, v22
	s_waitcnt vmcnt(0) lgkmcnt(0)
	v_mul_f32_e32 v28, v30, v7
	v_mul_f32_e32 v26, v30, v6
	v_fmac_f32_e32 v24, v22, v12
	v_mul_f32_e32 v12, v23, v12
	v_mul_f64 v[22:23], v[42:43], s[2:3]
	v_fmac_f32_e32 v28, v29, v6
	v_add_co_u32 v6, vcc_lo, v2, s5
	v_fma_f32 v12, v27, v13, -v12
	v_fma_f32 v13, v29, v7, -v26
	v_add_co_ci_u32_e32 v7, vcc_lo, s4, v3, vcc_lo
	v_cvt_f64_f32_e32 v[2:3], v28
	v_cvt_f64_f32_e32 v[26:27], v12
	;; [unrolled: 1-line block ×3, first 2 shown]
	global_store_dwordx2 v[6:7], v[14:15], off
	v_cvt_f32_f64_e32 v14, v[16:17]
	ds_read2_b64 v[10:13], v65 offset1:243
	v_cvt_f64_f32_e32 v[24:25], v24
	v_cvt_f32_f64_e32 v16, v[20:21]
	v_cvt_f32_f64_e32 v15, v[18:19]
	v_add_co_u32 v6, vcc_lo, v6, s5
	v_add_co_ci_u32_e32 v7, vcc_lo, s4, v7, vcc_lo
	v_cvt_f32_f64_e32 v17, v[22:23]
	s_clause 0x1
	buffer_load_dword v22, off, s[20:23], 0 offset:48
	buffer_load_dword v23, off, s[20:23], 0 offset:52
	v_add_co_u32 v18, vcc_lo, v6, s0
	v_add_co_ci_u32_e32 v19, vcc_lo, s1, v7, vcc_lo
	v_mul_f64 v[2:3], v[2:3], s[2:3]
	v_mul_f64 v[20:21], v[24:25], s[2:3]
	v_cvt_f32_f64_e32 v2, v[2:3]
	s_waitcnt vmcnt(0)
	v_mul_f32_e32 v30, v23, v5
	v_mul_f32_e32 v31, v23, v4
	v_fmac_f32_e32 v30, v22, v4
	v_mov_b32_e32 v4, v22
	v_mul_f64 v[22:23], v[26:27], s[2:3]
	ds_read_b64 v[26:27], v75 offset:50544
	s_clause 0x1
	buffer_load_dword v35, off, s[20:23], 0 offset:8
	buffer_load_dword v36, off, s[20:23], 0 offset:12
	v_cvt_f64_f32_e32 v[24:25], v30
	v_fma_f32 v31, v4, v5, -v31
	v_mul_f64 v[4:5], v[28:29], s[2:3]
	v_cvt_f64_f32_e32 v[28:29], v31
	v_cvt_f32_f64_e32 v3, v[4:5]
	s_waitcnt vmcnt(0) lgkmcnt(1)
	v_mul_f32_e32 v30, v36, v11
	v_mul_f32_e32 v31, v36, v10
	s_clause 0x1
	buffer_load_dword v36, off, s[20:23], 0 offset:40
	buffer_load_dword v37, off, s[20:23], 0 offset:44
	v_fmac_f32_e32 v30, v35, v10
	v_fma_f32 v10, v35, v11, -v31
	v_cvt_f64_f32_e32 v[10:11], v10
	v_mul_f64 v[10:11], v[10:11], s[2:3]
	s_waitcnt vmcnt(0)
	v_mul_f32_e32 v32, v37, v9
	v_mul_f32_e32 v33, v37, v8
	s_clause 0x1
	buffer_load_dword v37, off, s[20:23], 0 offset:64
	buffer_load_dword v38, off, s[20:23], 0 offset:68
	v_fmac_f32_e32 v32, v36, v8
	v_fma_f32 v33, v36, v9, -v33
	v_cvt_f64_f32_e32 v[8:9], v30
	v_cvt_f64_f32_e32 v[30:31], v32
	;; [unrolled: 1-line block ×3, first 2 shown]
	v_mul_f64 v[8:9], v[8:9], s[2:3]
	v_mul_f64 v[4:5], v[30:31], s[2:3]
	v_cvt_f32_f64_e32 v8, v[8:9]
	v_cvt_f32_f64_e32 v9, v[10:11]
	;; [unrolled: 1-line block ×3, first 2 shown]
	s_waitcnt vmcnt(0)
	v_mul_f32_e32 v34, v38, v1
	v_mov_b32_e32 v43, v37
	v_fmac_f32_e32 v34, v37, v0
	v_mul_f32_e32 v0, v38, v0
	s_clause 0x3
	buffer_load_dword v38, off, s[20:23], 0 offset:16
	buffer_load_dword v39, off, s[20:23], 0 offset:20
	;; [unrolled: 1-line block ×4, first 2 shown]
	global_store_dwordx2 v[6:7], v[14:15], off
	global_store_dwordx2 v[18:19], v[16:17], off
	v_cvt_f64_f32_e32 v[34:35], v34
	v_fma_f32 v0, v43, v1, -v0
	v_mul_f64 v[14:15], v[24:25], s[2:3]
	v_mul_f64 v[16:17], v[28:29], s[2:3]
	v_cvt_f32_f64_e32 v6, v[20:21]
	v_mul_f64 v[20:21], v[32:33], s[2:3]
	v_cvt_f64_f32_e32 v[0:1], v0
	v_cvt_f32_f64_e32 v7, v[22:23]
	v_add_co_u32 v18, vcc_lo, v18, s5
	v_add_co_ci_u32_e32 v19, vcc_lo, s4, v19, vcc_lo
	v_add_co_u32 v30, vcc_lo, v18, s5
	v_add_co_ci_u32_e32 v31, vcc_lo, s4, v19, vcc_lo
	v_mul_f64 v[22:23], v[34:35], s[2:3]
	v_cvt_f32_f64_e32 v14, v[14:15]
	v_cvt_f32_f64_e32 v15, v[16:17]
	v_add_co_u32 v16, vcc_lo, v30, s0
	v_mul_f64 v[0:1], v[0:1], s[2:3]
	v_add_co_ci_u32_e32 v17, vcc_lo, s1, v31, vcc_lo
	v_add_co_u32 v10, vcc_lo, v16, s5
	v_cvt_f32_f64_e32 v5, v[20:21]
	v_add_co_ci_u32_e32 v11, vcc_lo, s4, v17, vcc_lo
	global_store_dwordx2 v[18:19], v[6:7], off
	global_store_dwordx2 v[30:31], v[2:3], off
	v_cvt_f32_f64_e32 v20, v[22:23]
	v_add_co_u32 v22, vcc_lo, v10, s5
	v_add_co_ci_u32_e32 v23, vcc_lo, s4, v11, vcc_lo
	global_store_dwordx2 v[16:17], v[14:15], off
	v_cvt_f32_f64_e32 v21, v[0:1]
	v_add_co_u32 v6, vcc_lo, v22, s0
	v_add_co_ci_u32_e32 v7, vcc_lo, s1, v23, vcc_lo
	v_add_co_u32 v2, vcc_lo, v6, s5
	v_add_co_ci_u32_e32 v3, vcc_lo, s4, v7, vcc_lo
	;; [unrolled: 2-line block ×3, first 2 shown]
	s_waitcnt vmcnt(2)
	v_mul_f32_e32 v36, v39, v13
	v_mul_f32_e32 v37, v39, v12
	v_mov_b32_e32 v40, v38
	s_waitcnt vmcnt(0) lgkmcnt(0)
	v_mul_f32_e32 v38, v42, v27
	v_mul_f32_e32 v39, v42, v26
	v_fmac_f32_e32 v36, v40, v12
	v_fma_f32 v37, v40, v13, -v37
	v_fmac_f32_e32 v38, v41, v26
	v_fma_f32 v39, v41, v27, -v39
	v_cvt_f64_f32_e32 v[12:13], v36
	v_cvt_f64_f32_e32 v[26:27], v37
	;; [unrolled: 1-line block ×4, first 2 shown]
	v_mul_f64 v[12:13], v[12:13], s[2:3]
	v_mul_f64 v[24:25], v[26:27], s[2:3]
	;; [unrolled: 1-line block ×4, first 2 shown]
	v_cvt_f32_f64_e32 v0, v[12:13]
	v_cvt_f32_f64_e32 v1, v[24:25]
	;; [unrolled: 1-line block ×4, first 2 shown]
	global_store_dwordx2 v[10:11], v[8:9], off
	global_store_dwordx2 v[22:23], v[4:5], off
	global_store_dwordx2 v[6:7], v[20:21], off
	global_store_dwordx2 v[2:3], v[0:1], off
	global_store_dwordx2 v[14:15], v[12:13], off
.LBB0_2:
	s_endpgm
	.section	.rodata,"a",@progbits
	.p2align	6, 0x0
	.amdhsa_kernel bluestein_single_fwd_len6561_dim1_sp_op_CI_CI
		.amdhsa_group_segment_fixed_size 52488
		.amdhsa_private_segment_fixed_size 688
		.amdhsa_kernarg_size 104
		.amdhsa_user_sgpr_count 6
		.amdhsa_user_sgpr_private_segment_buffer 1
		.amdhsa_user_sgpr_dispatch_ptr 0
		.amdhsa_user_sgpr_queue_ptr 0
		.amdhsa_user_sgpr_kernarg_segment_ptr 1
		.amdhsa_user_sgpr_dispatch_id 0
		.amdhsa_user_sgpr_flat_scratch_init 0
		.amdhsa_user_sgpr_private_segment_size 0
		.amdhsa_wavefront_size32 1
		.amdhsa_uses_dynamic_stack 0
		.amdhsa_system_sgpr_private_segment_wavefront_offset 1
		.amdhsa_system_sgpr_workgroup_id_x 1
		.amdhsa_system_sgpr_workgroup_id_y 0
		.amdhsa_system_sgpr_workgroup_id_z 0
		.amdhsa_system_sgpr_workgroup_info 0
		.amdhsa_system_vgpr_workitem_id 0
		.amdhsa_next_free_vgpr 256
		.amdhsa_next_free_sgpr 24
		.amdhsa_reserve_vcc 1
		.amdhsa_reserve_flat_scratch 0
		.amdhsa_float_round_mode_32 0
		.amdhsa_float_round_mode_16_64 0
		.amdhsa_float_denorm_mode_32 3
		.amdhsa_float_denorm_mode_16_64 3
		.amdhsa_dx10_clamp 1
		.amdhsa_ieee_mode 1
		.amdhsa_fp16_overflow 0
		.amdhsa_workgroup_processor_mode 1
		.amdhsa_memory_ordered 1
		.amdhsa_forward_progress 0
		.amdhsa_shared_vgpr_count 0
		.amdhsa_exception_fp_ieee_invalid_op 0
		.amdhsa_exception_fp_denorm_src 0
		.amdhsa_exception_fp_ieee_div_zero 0
		.amdhsa_exception_fp_ieee_overflow 0
		.amdhsa_exception_fp_ieee_underflow 0
		.amdhsa_exception_fp_ieee_inexact 0
		.amdhsa_exception_int_div_zero 0
	.end_amdhsa_kernel
	.text
.Lfunc_end0:
	.size	bluestein_single_fwd_len6561_dim1_sp_op_CI_CI, .Lfunc_end0-bluestein_single_fwd_len6561_dim1_sp_op_CI_CI
                                        ; -- End function
	.section	.AMDGPU.csdata,"",@progbits
; Kernel info:
; codeLenInByte = 36764
; NumSgprs: 26
; NumVgprs: 256
; ScratchSize: 688
; MemoryBound: 0
; FloatMode: 240
; IeeeMode: 1
; LDSByteSize: 52488 bytes/workgroup (compile time only)
; SGPRBlocks: 3
; VGPRBlocks: 31
; NumSGPRsForWavesPerEU: 26
; NumVGPRsForWavesPerEU: 256
; Occupancy: 4
; WaveLimiterHint : 1
; COMPUTE_PGM_RSRC2:SCRATCH_EN: 1
; COMPUTE_PGM_RSRC2:USER_SGPR: 6
; COMPUTE_PGM_RSRC2:TRAP_HANDLER: 0
; COMPUTE_PGM_RSRC2:TGID_X_EN: 1
; COMPUTE_PGM_RSRC2:TGID_Y_EN: 0
; COMPUTE_PGM_RSRC2:TGID_Z_EN: 0
; COMPUTE_PGM_RSRC2:TIDIG_COMP_CNT: 0
	.text
	.p2alignl 6, 3214868480
	.fill 48, 4, 3214868480
	.type	__hip_cuid_9987c1b5dace4dbe,@object ; @__hip_cuid_9987c1b5dace4dbe
	.section	.bss,"aw",@nobits
	.globl	__hip_cuid_9987c1b5dace4dbe
__hip_cuid_9987c1b5dace4dbe:
	.byte	0                               ; 0x0
	.size	__hip_cuid_9987c1b5dace4dbe, 1

	.ident	"AMD clang version 19.0.0git (https://github.com/RadeonOpenCompute/llvm-project roc-6.4.0 25133 c7fe45cf4b819c5991fe208aaa96edf142730f1d)"
	.section	".note.GNU-stack","",@progbits
	.addrsig
	.addrsig_sym __hip_cuid_9987c1b5dace4dbe
	.amdgpu_metadata
---
amdhsa.kernels:
  - .args:
      - .actual_access:  read_only
        .address_space:  global
        .offset:         0
        .size:           8
        .value_kind:     global_buffer
      - .actual_access:  read_only
        .address_space:  global
        .offset:         8
        .size:           8
        .value_kind:     global_buffer
      - .actual_access:  read_only
        .address_space:  global
        .offset:         16
        .size:           8
        .value_kind:     global_buffer
      - .actual_access:  read_only
        .address_space:  global
        .offset:         24
        .size:           8
        .value_kind:     global_buffer
      - .actual_access:  read_only
        .address_space:  global
        .offset:         32
        .size:           8
        .value_kind:     global_buffer
      - .offset:         40
        .size:           8
        .value_kind:     by_value
      - .address_space:  global
        .offset:         48
        .size:           8
        .value_kind:     global_buffer
      - .address_space:  global
        .offset:         56
        .size:           8
        .value_kind:     global_buffer
      - .address_space:  global
        .offset:         64
        .size:           8
        .value_kind:     global_buffer
      - .address_space:  global
        .offset:         72
        .size:           8
        .value_kind:     global_buffer
      - .offset:         80
        .size:           4
        .value_kind:     by_value
      - .address_space:  global
        .offset:         88
        .size:           8
        .value_kind:     global_buffer
      - .address_space:  global
        .offset:         96
        .size:           8
        .value_kind:     global_buffer
    .group_segment_fixed_size: 52488
    .kernarg_segment_align: 8
    .kernarg_segment_size: 104
    .language:       OpenCL C
    .language_version:
      - 2
      - 0
    .max_flat_workgroup_size: 243
    .name:           bluestein_single_fwd_len6561_dim1_sp_op_CI_CI
    .private_segment_fixed_size: 688
    .sgpr_count:     26
    .sgpr_spill_count: 0
    .symbol:         bluestein_single_fwd_len6561_dim1_sp_op_CI_CI.kd
    .uniform_work_group_size: 1
    .uses_dynamic_stack: false
    .vgpr_count:     256
    .vgpr_spill_count: 171
    .wavefront_size: 32
    .workgroup_processor_mode: 1
amdhsa.target:   amdgcn-amd-amdhsa--gfx1030
amdhsa.version:
  - 1
  - 2
...

	.end_amdgpu_metadata
